;; amdgpu-corpus repo=ROCm/rocFFT kind=compiled arch=gfx1100 opt=O3
	.text
	.amdgcn_target "amdgcn-amd-amdhsa--gfx1100"
	.amdhsa_code_object_version 6
	.protected	bluestein_single_fwd_len1664_dim1_dp_op_CI_CI ; -- Begin function bluestein_single_fwd_len1664_dim1_dp_op_CI_CI
	.globl	bluestein_single_fwd_len1664_dim1_dp_op_CI_CI
	.p2align	8
	.type	bluestein_single_fwd_len1664_dim1_dp_op_CI_CI,@function
bluestein_single_fwd_len1664_dim1_dp_op_CI_CI: ; @bluestein_single_fwd_len1664_dim1_dp_op_CI_CI
; %bb.0:
	s_load_b128 s[8:11], s[0:1], 0x28
	v_mul_u32_u24_e32 v1, 0x13c, v0
	s_mov_b32 s2, exec_lo
	v_mov_b32_e32 v245, 0
	s_delay_alu instid0(VALU_DEP_2) | instskip(NEXT) | instid1(VALU_DEP_1)
	v_lshrrev_b32_e32 v1, 16, v1
	v_add_nc_u32_e32 v244, s15, v1
	s_waitcnt lgkmcnt(0)
	s_delay_alu instid0(VALU_DEP_1)
	v_cmpx_gt_u64_e64 s[8:9], v[244:245]
	s_cbranch_execz .LBB0_15
; %bb.1:
	v_mul_lo_u16 v1, 0xd0, v1
	s_clause 0x1
	s_load_b64 s[12:13], s[0:1], 0x0
	s_load_b64 s[8:9], s[0:1], 0x38
	s_delay_alu instid0(VALU_DEP_1) | instskip(NEXT) | instid1(VALU_DEP_1)
	v_sub_nc_u16 v0, v0, v1
	v_and_b32_e32 v241, 0xffff, v0
	v_cmp_gt_u16_e32 vcc_lo, 0x80, v0
	s_delay_alu instid0(VALU_DEP_2)
	v_lshlrev_b32_e32 v254, 4, v241
	v_or_b32_e32 v245, 0x80, v241
	v_or_b32_e32 v246, 0x100, v241
	;; [unrolled: 1-line block ×12, first 2 shown]
	scratch_store_b32 off, v0, off          ; 4-byte Folded Spill
	s_and_saveexec_b32 s3, vcc_lo
	s_cbranch_execz .LBB0_3
; %bb.2:
	s_load_b64 s[4:5], s[0:1], 0x18
	v_or_b32_e32 v94, 0x600, v241
	v_lshlrev_b32_e32 v93, 4, v255
	v_lshlrev_b32_e32 v52, 4, v249
	;; [unrolled: 1-line block ×6, first 2 shown]
	s_waitcnt lgkmcnt(0)
	s_load_b128 s[4:7], s[4:5], 0x0
	s_waitcnt lgkmcnt(0)
	v_mad_u64_u32 v[16:17], null, s6, v244, 0
	v_mad_u64_u32 v[18:19], null, s4, v241, 0
	v_mad_u64_u32 v[32:33], null, s4, v248, 0
	v_mad_u64_u32 v[20:21], null, s4, v245, 0
	v_mad_u64_u32 v[22:23], null, s4, v246, 0
	v_mad_u64_u32 v[24:25], null, s4, v144, 0
	v_mad_u64_u32 v[26:27], null, s4, v247, 0
	v_mad_u64_u32 v[29:30], null, s7, v244, v[17:18]
	v_dual_mov_b32 v28, v33 :: v_dual_lshlrev_b32 v1, 4, v144
	v_mad_u64_u32 v[33:34], null, s5, v245, v[21:22]
	v_mad_u64_u32 v[30:31], null, s5, v241, v[19:20]
	;; [unrolled: 1-line block ×6, first 2 shown]
	v_dual_mov_b32 v17, v29 :: v_dual_lshlrev_b32 v0, 4, v246
	v_mad_u64_u32 v[40:41], null, s4, v249, 0
	v_mad_u64_u32 v[44:45], null, s4, v250, 0
	;; [unrolled: 1-line block ×3, first 2 shown]
	v_mov_b32_e32 v19, v30
	v_lshlrev_b64 v[16:17], 4, v[16:17]
	v_mov_b32_e32 v66, v73
	v_mov_b32_e32 v21, v33
	v_dual_mov_b32 v27, v36 :: v_dual_mov_b32 v36, v41
	v_mad_u64_u32 v[74:75], null, s4, v253, 0
	v_mov_b32_e32 v33, v37
	v_mov_b32_e32 v37, v45
	v_lshlrev_b64 v[18:19], 4, v[18:19]
	v_add_co_u32 v90, s2, s10, v16
	v_mad_u64_u32 v[60:61], null, s4, v251, 0
	v_mov_b32_e32 v23, v34
	v_mad_u64_u32 v[67:68], null, s5, v252, v[66:67]
	v_add_co_ci_u32_e64 v91, s2, s11, v17, s2
	v_lshlrev_b32_e32 v68, 4, v251
	v_mad_u64_u32 v[38:39], null, s5, v249, v[36:37]
	v_lshlrev_b32_e32 v36, 4, v247
	v_lshlrev_b64 v[20:21], 4, v[20:21]
	v_mov_b32_e32 v25, v35
	v_lshlrev_b64 v[22:23], 4, v[22:23]
	v_add_co_u32 v18, s2, v90, v18
	s_delay_alu instid0(VALU_DEP_1) | instskip(NEXT) | instid1(VALU_DEP_4)
	v_add_co_ci_u32_e64 v19, s2, v91, v19, s2
	v_lshlrev_b64 v[16:17], 4, v[24:25]
	v_add_co_u32 v20, s2, v90, v20
	s_delay_alu instid0(VALU_DEP_1)
	v_add_co_ci_u32_e64 v21, s2, v91, v21, s2
	v_add_co_u32 v24, s2, v90, v22
	v_lshlrev_b64 v[34:35], 4, v[26:27]
	v_add_co_ci_u32_e64 v25, s2, v91, v23, s2
	v_add_co_u32 v28, s2, v90, v16
	v_mov_b32_e32 v66, v75
	v_lshlrev_b64 v[32:33], 4, v[32:33]
	v_add_co_ci_u32_e64 v29, s2, v91, v17, s2
	v_add_co_u32 v34, s2, v90, v34
	s_delay_alu instid0(VALU_DEP_1) | instskip(SKIP_2) | instid1(VALU_DEP_1)
	v_add_co_ci_u32_e64 v35, s2, v91, v35, s2
	v_mad_u64_u32 v[42:43], null, s5, v250, v[37:38]
	v_add_co_u32 v46, s2, v90, v32
	v_add_co_ci_u32_e64 v47, s2, v91, v33, s2
	v_mov_b32_e32 v41, v38
	s_clause 0x3
	global_load_b128 v[12:15], v254, s[12:13]
	global_load_b128 v[8:11], v254, s[12:13] offset:2048
	global_load_b128 v[4:7], v0, s[12:13]
	global_load_b128 v[0:3], v1, s[12:13]
	s_clause 0x4
	global_load_b128 v[16:19], v[18:19], off
	global_load_b128 v[20:23], v[20:21], off
	;; [unrolled: 1-line block ×5, first 2 shown]
	v_mov_b32_e32 v45, v42
	v_lshlrev_b64 v[48:49], 4, v[40:41]
	global_load_b128 v[40:43], v[46:47], off
	v_dual_mov_b32 v46, v61 :: v_dual_lshlrev_b32 v47, 4, v248
	v_mad_u64_u32 v[76:77], null, s4, v255, 0
	v_mad_u64_u32 v[78:79], null, s5, v253, v[66:67]
	;; [unrolled: 1-line block ×3, first 2 shown]
	s_delay_alu instid0(VALU_DEP_4)
	v_mad_u64_u32 v[50:51], null, s5, v251, v[46:47]
	v_lshlrev_b64 v[44:45], 4, v[44:45]
	v_mov_b32_e32 v73, v67
	v_mov_b32_e32 v75, v78
	v_mad_u64_u32 v[78:79], null, s5, v255, v[77:78]
	v_mov_b32_e32 v77, v85
	v_mov_b32_e32 v61, v50
	v_add_co_u32 v48, s2, v90, v48
	s_delay_alu instid0(VALU_DEP_1) | instskip(NEXT) | instid1(VALU_DEP_4)
	v_add_co_ci_u32_e64 v49, s2, v91, v49, s2
	v_mad_u64_u32 v[79:80], null, s5, v94, v[77:78]
	s_delay_alu instid0(VALU_DEP_4)
	v_lshlrev_b64 v[64:65], 4, v[60:61]
	v_add_co_u32 v56, s2, v90, v44
	v_lshlrev_b64 v[72:73], 4, v[72:73]
	v_mov_b32_e32 v77, v78
	v_add_co_ci_u32_e64 v57, s2, v91, v45, s2
	v_add_co_u32 v64, s2, v90, v64
	v_lshlrev_b64 v[74:75], 4, v[74:75]
	v_mov_b32_e32 v85, v79
	v_add_co_ci_u32_e64 v65, s2, v91, v65, s2
	v_add_co_u32 v72, s2, v90, v72
	v_lshlrev_b64 v[86:87], 4, v[76:77]
	v_add_co_ci_u32_e64 v73, s2, v91, v73, s2
	v_add_co_u32 v80, s2, v90, v74
	v_lshlrev_b64 v[84:85], 4, v[84:85]
	s_clause 0x1
	global_load_b128 v[36:39], v36, s[12:13]
	global_load_b128 v[44:47], v47, s[12:13]
	v_add_co_ci_u32_e64 v81, s2, v91, v75, s2
	v_add_co_u32 v88, s2, v90, v86
	global_load_b128 v[48:51], v[48:49], off
	global_load_b128 v[52:55], v52, s[12:13]
	global_load_b128 v[56:59], v[56:57], off
	global_load_b128 v[60:63], v62, s[12:13]
	;; [unrolled: 2-line block ×3, first 2 shown]
	v_add_co_ci_u32_e64 v89, s2, v91, v87, s2
	global_load_b128 v[72:75], v[72:73], off
	v_add_co_u32 v100, s2, v90, v84
	global_load_b128 v[76:79], v82, s[12:13]
	global_load_b128 v[80:83], v[80:81], off
	v_add_co_ci_u32_e64 v101, s2, v91, v85, s2
	global_load_b128 v[84:87], v92, s[12:13]
	global_load_b128 v[88:91], v[88:89], off
	s_clause 0x1
	global_load_b128 v[92:95], v93, s[12:13]
	global_load_b128 v[96:99], v96, s[12:13]
	global_load_b128 v[100:103], v[100:101], off
	s_waitcnt vmcnt(21)
	v_mul_f64 v[104:105], v[18:19], v[14:15]
	v_mul_f64 v[14:15], v[16:17], v[14:15]
	s_waitcnt vmcnt(20)
	v_mul_f64 v[106:107], v[22:23], v[10:11]
	v_mul_f64 v[108:109], v[20:21], v[10:11]
	;; [unrolled: 3-line block ×4, first 2 shown]
	v_fma_f64 v[10:11], v[16:17], v[12:13], v[104:105]
	v_fma_f64 v[12:13], v[18:19], v[12:13], -v[14:15]
	v_fma_f64 v[6:7], v[20:21], v[8:9], v[106:107]
	v_fma_f64 v[8:9], v[22:23], v[8:9], -v[108:109]
	;; [unrolled: 2-line block ×4, first 2 shown]
	s_waitcnt vmcnt(15)
	v_mul_f64 v[118:119], v[34:35], v[38:39]
	v_mul_f64 v[38:39], v[32:33], v[38:39]
	s_waitcnt vmcnt(14)
	v_mul_f64 v[120:121], v[42:43], v[46:47]
	v_mul_f64 v[46:47], v[40:41], v[46:47]
	;; [unrolled: 3-line block ×9, first 2 shown]
	v_fma_f64 v[18:19], v[32:33], v[36:37], v[118:119]
	v_fma_f64 v[20:21], v[34:35], v[36:37], -v[38:39]
	v_fma_f64 v[22:23], v[40:41], v[44:45], v[120:121]
	v_fma_f64 v[24:25], v[42:43], v[44:45], -v[46:47]
	;; [unrolled: 2-line block ×9, first 2 shown]
	ds_store_b128 v254, v[10:13]
	ds_store_b128 v254, v[6:9] offset:2048
	ds_store_b128 v254, v[2:5] offset:4096
	;; [unrolled: 1-line block ×12, first 2 shown]
.LBB0_3:
	s_or_b32 exec_lo, exec_lo, s3
	s_clause 0x1
	s_load_b64 s[2:3], s[0:1], 0x20
	s_load_b64 s[0:1], s[0:1], 0x8
	s_waitcnt lgkmcnt(0)
	s_waitcnt_vscnt null, 0x0
	s_barrier
	buffer_gl0_inv
                                        ; implicit-def: $vgpr20_vgpr21
                                        ; implicit-def: $vgpr48_vgpr49
                                        ; implicit-def: $vgpr60_vgpr61
                                        ; implicit-def: $vgpr44_vgpr45
                                        ; implicit-def: $vgpr40_vgpr41
                                        ; implicit-def: $vgpr36_vgpr37
                                        ; implicit-def: $vgpr32_vgpr33
                                        ; implicit-def: $vgpr28_vgpr29
                                        ; implicit-def: $vgpr24_vgpr25
                                        ; implicit-def: $vgpr64_vgpr65
                                        ; implicit-def: $vgpr68_vgpr69
                                        ; implicit-def: $vgpr56_vgpr57
                                        ; implicit-def: $vgpr52_vgpr53
	s_and_saveexec_b32 s4, vcc_lo
	s_cbranch_execz .LBB0_5
; %bb.4:
	ds_load_b128 v[20:23], v254
	ds_load_b128 v[52:55], v254 offset:2048
	ds_load_b128 v[56:59], v254 offset:4096
	;; [unrolled: 1-line block ×12, first 2 shown]
.LBB0_5:
	s_or_b32 exec_lo, exec_lo, s4
	s_waitcnt lgkmcnt(0)
	v_add_f64 v[80:81], v[54:55], -v[26:27]
	s_mov_b32 s10, 0x4267c47c
	s_mov_b32 s11, 0xbfddbe06
	v_add_f64 v[76:77], v[24:25], v[52:53]
	v_add_f64 v[98:99], v[58:59], -v[30:31]
	s_mov_b32 s14, 0x42a4c3d2
	s_mov_b32 s6, 0xe00740e9
	;; [unrolled: 1-line block ×4, first 2 shown]
	v_add_f64 v[72:73], v[28:29], v[56:57]
	v_add_f64 v[128:129], v[52:53], -v[24:25]
	s_mov_b32 s4, 0x1ea71119
	s_mov_b32 s5, 0x3fe22d96
	v_add_f64 v[124:125], v[26:27], v[54:55]
	v_add_f64 v[116:117], v[56:57], -v[28:29]
	v_add_f64 v[82:83], v[30:31], v[58:59]
	v_add_f64 v[122:123], v[50:51], -v[34:35]
	s_mov_b32 s24, 0x66966769
	s_mov_b32 s25, 0xbfefc445
	v_add_f64 v[86:87], v[48:49], v[32:33]
	v_add_f64 v[130:131], v[48:49], -v[32:33]
	s_mov_b32 s16, 0xebaa3ed8
	s_mov_b32 s17, 0x3fbedb7d
	;; [unrolled: 4-line block ×5, first 2 shown]
	v_add_f64 v[100:101], v[40:41], v[68:69]
	v_add_f64 v[138:139], v[68:69], -v[40:41]
	s_mov_b32 s20, 0xd0032e0c
	v_mul_f64 v[78:79], v[80:81], s[10:11]
	s_mov_b32 s21, 0xbfe7f3cc
	v_add_f64 v[112:113], v[42:43], v[70:71]
	v_add_f64 v[142:143], v[66:67], -v[46:47]
	v_mul_f64 v[74:75], v[98:99], s[14:15]
	s_mov_b32 s34, 0x4bc48dbf
	s_mov_b32 s35, 0xbfcea1e5
	v_add_f64 v[108:109], v[44:45], v[64:65]
	v_add_f64 v[155:156], v[64:65], -v[44:45]
	s_mov_b32 s22, 0x93053d00
	v_mul_f64 v[126:127], v[128:129], s[10:11]
	s_mov_b32 s23, 0xbfef11f4
	v_add_f64 v[118:119], v[46:47], v[66:67]
	v_mul_f64 v[225:226], v[80:81], s[14:15]
	v_mul_f64 v[84:85], v[116:117], s[14:15]
	;; [unrolled: 1-line block ×9, first 2 shown]
	s_mov_b32 s39, 0x3fe5384d
	s_mov_b32 s38, s28
	v_mul_f64 v[96:97], v[132:133], s[26:27]
	v_mul_f64 v[149:150], v[132:133], s[38:39]
	s_mov_b32 s31, 0x3fefc445
	s_mov_b32 s30, s24
	v_mul_f64 v[106:107], v[134:135], s[26:27]
	v_mul_f64 v[161:162], v[134:135], s[38:39]
	;; [unrolled: 4-line block ×3, first 2 shown]
	v_mul_f64 v[229:230], v[80:81], s[24:25]
	v_mul_f64 v[159:160], v[98:99], s[34:35]
	;; [unrolled: 1-line block ×4, first 2 shown]
	v_fma_f64 v[0:1], v[76:77], s[6:7], v[78:79]
	v_mul_f64 v[231:232], v[128:129], s[24:25]
	v_mul_f64 v[169:170], v[116:117], s[34:35]
	;; [unrolled: 1-line block ×3, first 2 shown]
	v_fma_f64 v[2:3], v[72:73], s[4:5], v[74:75]
	v_mul_f64 v[157:158], v[142:143], s[36:37]
	s_mov_b32 s41, 0x3fedeba7
	s_mov_b32 s40, s26
	v_mul_f64 v[120:121], v[155:156], s[34:35]
	v_mul_f64 v[165:166], v[155:156], s[36:37]
	;; [unrolled: 1-line block ×6, first 2 shown]
	v_fma_f64 v[4:5], v[82:83], s[4:5], -v[84:85]
	v_fma_f64 v[6:7], v[72:73], s[18:19], v[140:141]
	v_mul_f64 v[173:174], v[136:137], s[14:15]
	v_mul_f64 v[183:184], v[138:139], s[14:15]
	v_fma_f64 v[8:9], v[82:83], s[18:19], -v[147:148]
	v_mul_f64 v[177:178], v[142:143], s[28:29]
	v_mul_f64 v[187:188], v[155:156], s[28:29]
	;; [unrolled: 1-line block ×10, first 2 shown]
	s_mov_b32 s45, 0x3fcea1e5
	s_mov_b32 s44, s34
	;; [unrolled: 1-line block ×3, first 2 shown]
	v_mul_f64 v[195:196], v[136:137], s[44:45]
	v_mul_f64 v[203:204], v[138:139], s[44:45]
	s_mov_b32 s42, s14
	v_fma_f64 v[10:11], v[72:73], s[22:23], v[159:160]
	v_mul_f64 v[199:200], v[142:143], s[42:43]
	v_mul_f64 v[209:210], v[155:156], s[42:43]
	v_add_f64 v[0:1], v[20:21], v[0:1]
	v_mul_f64 v[237:238], v[80:81], s[28:29]
	v_fma_f64 v[12:13], v[82:83], s[22:23], -v[169:170]
	v_mul_f64 v[201:202], v[98:99], s[30:31]
	v_mul_f64 v[239:240], v[128:129], s[28:29]
	;; [unrolled: 1-line block ×8, first 2 shown]
	s_barrier
	buffer_gl0_inv
	v_fma_f64 v[14:15], v[72:73], s[20:21], v[181:182]
	v_fma_f64 v[16:17], v[82:83], s[20:21], -v[189:190]
	v_add_f64 v[0:1], v[2:3], v[0:1]
	v_fma_f64 v[2:3], v[124:125], s[6:7], -v[126:127]
	v_fma_f64 v[18:19], v[72:73], s[16:17], v[201:202]
	v_fma_f64 v[205:206], v[82:83], s[16:17], -v[215:216]
	s_delay_alu instid0(VALU_DEP_3) | instskip(NEXT) | instid1(VALU_DEP_1)
	v_add_f64 v[2:3], v[22:23], v[2:3]
	v_add_f64 v[2:3], v[4:5], v[2:3]
	v_fma_f64 v[4:5], v[86:87], s[16:17], v[88:89]
	s_delay_alu instid0(VALU_DEP_1) | instskip(SKIP_1) | instid1(VALU_DEP_1)
	v_add_f64 v[0:1], v[4:5], v[0:1]
	v_fma_f64 v[4:5], v[90:91], s[16:17], -v[92:93]
	v_add_f64 v[2:3], v[4:5], v[2:3]
	v_fma_f64 v[4:5], v[94:95], s[18:19], v[96:97]
	s_delay_alu instid0(VALU_DEP_1) | instskip(SKIP_1) | instid1(VALU_DEP_1)
	v_add_f64 v[0:1], v[4:5], v[0:1]
	v_fma_f64 v[4:5], v[104:105], s[18:19], -v[106:107]
	v_add_f64 v[2:3], v[4:5], v[2:3]
	v_fma_f64 v[4:5], v[100:101], s[20:21], v[102:103]
	s_delay_alu instid0(VALU_DEP_1) | instskip(SKIP_1) | instid1(VALU_DEP_1)
	v_add_f64 v[0:1], v[4:5], v[0:1]
	v_fma_f64 v[4:5], v[112:113], s[20:21], -v[114:115]
	v_add_f64 v[2:3], v[4:5], v[2:3]
	v_fma_f64 v[4:5], v[108:109], s[22:23], v[110:111]
	s_delay_alu instid0(VALU_DEP_1) | instskip(SKIP_1) | instid1(VALU_DEP_1)
	v_add_f64 v[0:1], v[4:5], v[0:1]
	v_fma_f64 v[4:5], v[118:119], s[22:23], -v[120:121]
	v_add_f64 v[2:3], v[4:5], v[2:3]
	v_fma_f64 v[4:5], v[76:77], s[4:5], v[225:226]
	s_delay_alu instid0(VALU_DEP_1) | instskip(NEXT) | instid1(VALU_DEP_1)
	v_add_f64 v[4:5], v[20:21], v[4:5]
	v_add_f64 v[4:5], v[6:7], v[4:5]
	v_fma_f64 v[6:7], v[124:125], s[4:5], -v[227:228]
	s_delay_alu instid0(VALU_DEP_1) | instskip(NEXT) | instid1(VALU_DEP_1)
	v_add_f64 v[6:7], v[22:23], v[6:7]
	v_add_f64 v[6:7], v[8:9], v[6:7]
	v_fma_f64 v[8:9], v[86:87], s[22:23], v[145:146]
	s_delay_alu instid0(VALU_DEP_1) | instskip(SKIP_1) | instid1(VALU_DEP_1)
	v_add_f64 v[4:5], v[8:9], v[4:5]
	v_fma_f64 v[8:9], v[90:91], s[22:23], -v[151:152]
	v_add_f64 v[6:7], v[8:9], v[6:7]
	v_fma_f64 v[8:9], v[94:95], s[20:21], v[149:150]
	s_delay_alu instid0(VALU_DEP_1) | instskip(SKIP_1) | instid1(VALU_DEP_1)
	v_add_f64 v[4:5], v[8:9], v[4:5]
	v_fma_f64 v[8:9], v[104:105], s[20:21], -v[161:162]
	v_add_f64 v[6:7], v[8:9], v[6:7]
	v_fma_f64 v[8:9], v[100:101], s[16:17], v[153:154]
	s_delay_alu instid0(VALU_DEP_1) | instskip(SKIP_1) | instid1(VALU_DEP_1)
	v_add_f64 v[4:5], v[8:9], v[4:5]
	v_fma_f64 v[8:9], v[112:113], s[16:17], -v[163:164]
	v_add_f64 v[6:7], v[8:9], v[6:7]
	v_fma_f64 v[8:9], v[108:109], s[6:7], v[157:158]
	s_delay_alu instid0(VALU_DEP_1) | instskip(SKIP_1) | instid1(VALU_DEP_1)
	v_add_f64 v[4:5], v[8:9], v[4:5]
	v_fma_f64 v[8:9], v[118:119], s[6:7], -v[165:166]
	v_add_f64 v[6:7], v[8:9], v[6:7]
	v_fma_f64 v[8:9], v[76:77], s[16:17], v[229:230]
	s_delay_alu instid0(VALU_DEP_1) | instskip(NEXT) | instid1(VALU_DEP_1)
	v_add_f64 v[8:9], v[20:21], v[8:9]
	v_add_f64 v[8:9], v[10:11], v[8:9]
	v_fma_f64 v[10:11], v[124:125], s[16:17], -v[231:232]
	s_delay_alu instid0(VALU_DEP_1) | instskip(NEXT) | instid1(VALU_DEP_1)
	;; [unrolled: 28-line block ×4, first 2 shown]
	v_add_f64 v[18:19], v[22:23], v[18:19]
	v_add_f64 v[18:19], v[205:206], v[18:19]
	v_mul_f64 v[205:206], v[122:123], s[14:15]
	s_delay_alu instid0(VALU_DEP_1) | instskip(NEXT) | instid1(VALU_DEP_1)
	v_fma_f64 v[207:208], v[86:87], s[4:5], v[205:206]
	v_add_f64 v[16:17], v[207:208], v[16:17]
	v_fma_f64 v[207:208], v[90:91], s[4:5], -v[217:218]
	s_delay_alu instid0(VALU_DEP_1) | instskip(SKIP_1) | instid1(VALU_DEP_1)
	v_add_f64 v[18:19], v[207:208], v[18:19]
	v_fma_f64 v[207:208], v[94:95], s[22:23], v[211:212]
	v_add_f64 v[16:17], v[207:208], v[16:17]
	v_fma_f64 v[207:208], v[104:105], s[22:23], -v[219:220]
	s_delay_alu instid0(VALU_DEP_1) | instskip(SKIP_1) | instid1(VALU_DEP_1)
	v_add_f64 v[18:19], v[207:208], v[18:19]
	;; [unrolled: 5-line block ×3, first 2 shown]
	v_mul_f64 v[207:208], v[142:143], s[26:27]
	v_fma_f64 v[221:222], v[108:109], s[18:19], v[207:208]
	s_delay_alu instid0(VALU_DEP_1) | instskip(SKIP_1) | instid1(VALU_DEP_1)
	v_add_f64 v[16:17], v[221:222], v[16:17]
	v_mul_f64 v[221:222], v[155:156], s[26:27]
	v_fma_f64 v[242:243], v[118:119], s[18:19], -v[221:222]
	s_delay_alu instid0(VALU_DEP_1)
	v_add_f64 v[18:19], v[242:243], v[18:19]
	v_mul_lo_u16 v242, v241, 13
	s_and_saveexec_b32 s33, vcc_lo
	s_cbranch_execz .LBB0_7
; %bb.6:
	v_add_f64 v[52:53], v[20:21], v[52:53]
	v_add_f64 v[54:55], v[22:23], v[54:55]
	s_delay_alu instid0(VALU_DEP_2) | instskip(NEXT) | instid1(VALU_DEP_2)
	v_add_f64 v[52:53], v[56:57], v[52:53]
	v_add_f64 v[54:55], v[58:59], v[54:55]
	s_delay_alu instid0(VALU_DEP_2) | instskip(NEXT) | instid1(VALU_DEP_2)
	v_add_f64 v[48:49], v[48:49], v[52:53]
	v_add_f64 v[50:51], v[50:51], v[54:55]
	v_mul_f64 v[54:55], v[76:77], s[6:7]
	s_delay_alu instid0(VALU_DEP_3) | instskip(NEXT) | instid1(VALU_DEP_3)
	v_add_f64 v[48:49], v[60:61], v[48:49]
	v_add_f64 v[50:51], v[62:63], v[50:51]
	s_delay_alu instid0(VALU_DEP_3) | instskip(NEXT) | instid1(VALU_DEP_3)
	v_add_f64 v[54:55], v[54:55], -v[78:79]
	v_add_f64 v[48:49], v[68:69], v[48:49]
	s_delay_alu instid0(VALU_DEP_3) | instskip(NEXT) | instid1(VALU_DEP_3)
	v_add_f64 v[50:51], v[70:71], v[50:51]
	v_add_f64 v[54:55], v[20:21], v[54:55]
	v_mul_f64 v[70:71], v[142:143], s[30:31]
	s_delay_alu instid0(VALU_DEP_4) | instskip(NEXT) | instid1(VALU_DEP_4)
	v_add_f64 v[48:49], v[64:65], v[48:49]
	v_add_f64 v[50:51], v[66:67], v[50:51]
	s_delay_alu instid0(VALU_DEP_2) | instskip(NEXT) | instid1(VALU_DEP_2)
	v_add_f64 v[44:45], v[44:45], v[48:49]
	v_add_f64 v[46:47], v[46:47], v[50:51]
	v_mul_f64 v[50:51], v[80:81], s[34:35]
	v_mul_f64 v[48:49], v[124:125], s[6:7]
	s_delay_alu instid0(VALU_DEP_4) | instskip(NEXT) | instid1(VALU_DEP_4)
	v_add_f64 v[40:41], v[40:41], v[44:45]
	v_add_f64 v[42:43], v[42:43], v[46:47]
	v_mul_f64 v[46:47], v[76:77], s[4:5]
	v_mul_f64 v[44:45], v[124:125], s[4:5]
	v_fma_f64 v[52:53], v[76:77], s[22:23], v[50:51]
	v_fma_f64 v[50:51], v[76:77], s[22:23], -v[50:51]
	v_add_f64 v[48:49], v[126:127], v[48:49]
	v_add_f64 v[36:37], v[36:37], v[40:41]
	;; [unrolled: 1-line block ×3, first 2 shown]
	v_mul_f64 v[40:41], v[124:125], s[16:17]
	v_mul_f64 v[42:43], v[76:77], s[16:17]
	v_add_f64 v[46:47], v[46:47], -v[225:226]
	v_add_f64 v[44:45], v[227:228], v[44:45]
	v_add_f64 v[52:53], v[20:21], v[52:53]
	;; [unrolled: 1-line block ×6, first 2 shown]
	v_mul_f64 v[36:37], v[124:125], s[18:19]
	v_mul_f64 v[38:39], v[76:77], s[18:19]
	v_add_f64 v[40:41], v[231:232], v[40:41]
	v_add_f64 v[42:43], v[42:43], -v[229:230]
	v_add_f64 v[28:29], v[28:29], v[32:33]
	v_add_f64 v[30:31], v[30:31], v[34:35]
	v_mul_f64 v[34:35], v[76:77], s[20:21]
	v_add_f64 v[36:37], v[235:236], v[36:37]
	v_mul_f64 v[32:33], v[124:125], s[20:21]
	v_add_f64 v[38:39], v[38:39], -v[233:234]
	v_mul_f64 v[76:77], v[118:119], s[16:17]
	v_add_f64 v[24:25], v[24:25], v[28:29]
	v_mul_f64 v[28:29], v[124:125], s[22:23]
	v_add_f64 v[26:27], v[26:27], v[30:31]
	v_add_f64 v[34:35], v[34:35], -v[237:238]
	v_add_f64 v[60:61], v[22:23], v[36:37]
	v_add_f64 v[36:37], v[22:23], v[40:41]
	v_mul_f64 v[40:41], v[82:83], s[6:7]
	v_add_f64 v[32:33], v[239:240], v[32:33]
	v_add_f64 v[62:63], v[20:21], v[38:39]
	;; [unrolled: 1-line block ×3, first 2 shown]
	v_mul_f64 v[42:43], v[90:91], s[20:21]
	v_fma_f64 v[30:31], v[128:129], s[44:45], v[28:29]
	v_fma_f64 v[28:29], v[128:129], s[34:35], v[28:29]
	v_add_f64 v[58:59], v[20:21], v[34:35]
	v_add_f64 v[34:35], v[20:21], v[46:47]
	v_fma_f64 v[20:21], v[116:117], s[10:11], v[40:41]
	v_add_f64 v[56:57], v[22:23], v[32:33]
	v_add_f64 v[32:33], v[22:23], v[44:45]
	v_fma_f64 v[40:41], v[116:117], s[36:37], v[40:41]
	v_fma_f64 v[44:45], v[130:131], s[38:39], v[42:43]
	;; [unrolled: 1-line block ×3, first 2 shown]
	v_add_f64 v[30:31], v[22:23], v[30:31]
	v_add_f64 v[28:29], v[22:23], v[28:29]
	s_delay_alu instid0(VALU_DEP_2) | instskip(SKIP_1) | instid1(VALU_DEP_3)
	v_add_f64 v[20:21], v[20:21], v[30:31]
	v_mul_f64 v[30:31], v[98:99], s[36:37]
	v_add_f64 v[28:29], v[40:41], v[28:29]
	s_delay_alu instid0(VALU_DEP_3) | instskip(NEXT) | instid1(VALU_DEP_3)
	v_add_f64 v[20:21], v[44:45], v[20:21]
	v_fma_f64 v[22:23], v[72:73], s[6:7], v[30:31]
	v_mul_f64 v[44:45], v[122:123], s[28:29]
	v_fma_f64 v[30:31], v[72:73], s[6:7], -v[30:31]
	v_add_f64 v[28:29], v[42:43], v[28:29]
	v_fma_f64 v[42:43], v[108:109], s[16:17], -v[70:71]
	v_add_f64 v[22:23], v[22:23], v[52:53]
	v_fma_f64 v[46:47], v[86:87], s[20:21], v[44:45]
	v_add_f64 v[30:31], v[30:31], v[50:51]
	v_fma_f64 v[40:41], v[86:87], s[20:21], -v[44:45]
	v_mul_f64 v[44:45], v[90:91], s[22:23]
	v_mul_f64 v[50:51], v[104:105], s[20:21]
	v_add_f64 v[22:23], v[46:47], v[22:23]
	v_mul_f64 v[46:47], v[104:105], s[4:5]
	v_add_f64 v[30:31], v[40:41], v[30:31]
	v_add_f64 v[44:45], v[151:152], v[44:45]
	;; [unrolled: 1-line block ×3, first 2 shown]
	s_delay_alu instid0(VALU_DEP_4) | instskip(SKIP_1) | instid1(VALU_DEP_2)
	v_fma_f64 v[52:53], v[134:135], s[14:15], v[46:47]
	v_fma_f64 v[46:47], v[134:135], s[42:43], v[46:47]
	v_add_f64 v[20:21], v[52:53], v[20:21]
	v_mul_f64 v[52:53], v[132:133], s[42:43]
	s_delay_alu instid0(VALU_DEP_3) | instskip(SKIP_1) | instid1(VALU_DEP_3)
	v_add_f64 v[28:29], v[46:47], v[28:29]
	v_mul_f64 v[46:47], v[86:87], s[22:23]
	v_fma_f64 v[64:65], v[94:95], s[4:5], v[52:53]
	v_fma_f64 v[40:41], v[94:95], s[4:5], -v[52:53]
	s_delay_alu instid0(VALU_DEP_3) | instskip(SKIP_1) | instid1(VALU_DEP_4)
	v_add_f64 v[46:47], v[46:47], -v[145:146]
	v_mul_f64 v[52:53], v[94:95], s[20:21]
	v_add_f64 v[22:23], v[64:65], v[22:23]
	v_mul_f64 v[64:65], v[112:113], s[18:19]
	v_add_f64 v[30:31], v[40:41], v[30:31]
	s_delay_alu instid0(VALU_DEP_4) | instskip(NEXT) | instid1(VALU_DEP_3)
	v_add_f64 v[52:53], v[52:53], -v[149:150]
	v_fma_f64 v[66:67], v[138:139], s[40:41], v[64:65]
	v_fma_f64 v[64:65], v[138:139], s[26:27], v[64:65]
	s_delay_alu instid0(VALU_DEP_2) | instskip(SKIP_1) | instid1(VALU_DEP_3)
	v_add_f64 v[20:21], v[66:67], v[20:21]
	v_mul_f64 v[66:67], v[136:137], s[26:27]
	v_add_f64 v[28:29], v[64:65], v[28:29]
	v_mul_f64 v[64:65], v[112:113], s[16:17]
	s_delay_alu instid0(VALU_DEP_3) | instskip(SKIP_1) | instid1(VALU_DEP_3)
	v_fma_f64 v[68:69], v[100:101], s[18:19], v[66:67]
	v_fma_f64 v[40:41], v[100:101], s[18:19], -v[66:67]
	v_add_f64 v[64:65], v[163:164], v[64:65]
	s_delay_alu instid0(VALU_DEP_3) | instskip(SKIP_1) | instid1(VALU_DEP_4)
	v_add_f64 v[68:69], v[68:69], v[22:23]
	v_fma_f64 v[22:23], v[155:156], s[24:25], v[76:77]
	v_add_f64 v[40:41], v[40:41], v[30:31]
	s_delay_alu instid0(VALU_DEP_2) | instskip(SKIP_1) | instid1(VALU_DEP_1)
	v_add_f64 v[22:23], v[22:23], v[20:21]
	v_fma_f64 v[20:21], v[108:109], s[16:17], v[70:71]
	v_add_f64 v[20:21], v[20:21], v[68:69]
	v_fma_f64 v[68:69], v[155:156], s[30:31], v[76:77]
	s_delay_alu instid0(VALU_DEP_1) | instskip(SKIP_3) | instid1(VALU_DEP_2)
	v_add_f64 v[30:31], v[68:69], v[28:29]
	v_add_f64 v[28:29], v[42:43], v[40:41]
	v_mul_f64 v[40:41], v[82:83], s[18:19]
	v_mul_f64 v[42:43], v[72:73], s[18:19]
	v_add_f64 v[40:41], v[147:148], v[40:41]
	s_delay_alu instid0(VALU_DEP_2) | instskip(NEXT) | instid1(VALU_DEP_2)
	v_add_f64 v[42:43], v[42:43], -v[140:141]
	v_add_f64 v[32:33], v[40:41], v[32:33]
	s_delay_alu instid0(VALU_DEP_2) | instskip(SKIP_2) | instid1(VALU_DEP_4)
	v_add_f64 v[34:35], v[42:43], v[34:35]
	v_mul_f64 v[40:41], v[100:101], s[16:17]
	v_mul_f64 v[42:43], v[118:119], s[6:7]
	v_add_f64 v[32:33], v[44:45], v[32:33]
	s_delay_alu instid0(VALU_DEP_4) | instskip(NEXT) | instid1(VALU_DEP_4)
	v_add_f64 v[34:35], v[46:47], v[34:35]
	v_add_f64 v[40:41], v[40:41], -v[153:154]
	v_mul_f64 v[44:45], v[108:109], s[6:7]
	v_add_f64 v[42:43], v[165:166], v[42:43]
	v_mul_f64 v[46:47], v[86:87], s[18:19]
	v_add_f64 v[32:33], v[50:51], v[32:33]
	v_add_f64 v[34:35], v[52:53], v[34:35]
	v_mul_f64 v[50:51], v[104:105], s[6:7]
	v_add_f64 v[44:45], v[44:45], -v[157:158]
	v_mul_f64 v[52:53], v[94:95], s[6:7]
	v_add_f64 v[46:47], v[46:47], -v[167:168]
	v_add_f64 v[32:33], v[64:65], v[32:33]
	v_add_f64 v[40:41], v[40:41], v[34:35]
	;; [unrolled: 1-line block ×3, first 2 shown]
	v_mul_f64 v[64:65], v[112:113], s[4:5]
	v_add_f64 v[52:53], v[52:53], -v[171:172]
	v_add_f64 v[34:35], v[42:43], v[32:33]
	v_add_f64 v[32:33], v[44:45], v[40:41]
	v_mul_f64 v[40:41], v[82:83], s[22:23]
	v_mul_f64 v[42:43], v[72:73], s[22:23]
	;; [unrolled: 1-line block ×3, first 2 shown]
	v_add_f64 v[64:65], v[183:184], v[64:65]
	s_delay_alu instid0(VALU_DEP_4) | instskip(NEXT) | instid1(VALU_DEP_4)
	v_add_f64 v[40:41], v[169:170], v[40:41]
	v_add_f64 v[42:43], v[42:43], -v[159:160]
	s_delay_alu instid0(VALU_DEP_4) | instskip(NEXT) | instid1(VALU_DEP_3)
	v_add_f64 v[44:45], v[175:176], v[44:45]
	v_add_f64 v[36:37], v[40:41], v[36:37]
	s_delay_alu instid0(VALU_DEP_3) | instskip(SKIP_2) | instid1(VALU_DEP_4)
	v_add_f64 v[38:39], v[42:43], v[38:39]
	v_mul_f64 v[40:41], v[100:101], s[4:5]
	v_mul_f64 v[42:43], v[118:119], s[20:21]
	v_add_f64 v[36:37], v[44:45], v[36:37]
	s_delay_alu instid0(VALU_DEP_4) | instskip(NEXT) | instid1(VALU_DEP_4)
	v_add_f64 v[38:39], v[46:47], v[38:39]
	v_add_f64 v[40:41], v[40:41], -v[173:174]
	v_mul_f64 v[44:45], v[108:109], s[20:21]
	v_add_f64 v[42:43], v[187:188], v[42:43]
	v_mul_f64 v[46:47], v[86:87], s[6:7]
	v_add_f64 v[36:37], v[50:51], v[36:37]
	v_add_f64 v[38:39], v[52:53], v[38:39]
	v_mul_f64 v[50:51], v[104:105], s[16:17]
	v_add_f64 v[44:45], v[44:45], -v[177:178]
	v_mul_f64 v[52:53], v[94:95], s[16:17]
	v_add_f64 v[46:47], v[46:47], -v[185:186]
	v_add_f64 v[36:37], v[64:65], v[36:37]
	v_add_f64 v[40:41], v[40:41], v[38:39]
	;; [unrolled: 1-line block ×3, first 2 shown]
	v_mul_f64 v[64:65], v[112:113], s[22:23]
	v_add_f64 v[52:53], v[52:53], -v[191:192]
	v_add_f64 v[38:39], v[42:43], v[36:37]
	v_add_f64 v[36:37], v[44:45], v[40:41]
	v_mul_f64 v[40:41], v[82:83], s[20:21]
	v_mul_f64 v[42:43], v[72:73], s[20:21]
	;; [unrolled: 1-line block ×3, first 2 shown]
	v_add_f64 v[64:65], v[203:204], v[64:65]
	s_delay_alu instid0(VALU_DEP_4) | instskip(NEXT) | instid1(VALU_DEP_4)
	v_add_f64 v[40:41], v[189:190], v[40:41]
	v_add_f64 v[42:43], v[42:43], -v[181:182]
	s_delay_alu instid0(VALU_DEP_4) | instskip(NEXT) | instid1(VALU_DEP_3)
	v_add_f64 v[44:45], v[193:194], v[44:45]
	v_add_f64 v[40:41], v[40:41], v[60:61]
	s_delay_alu instid0(VALU_DEP_3) | instskip(SKIP_2) | instid1(VALU_DEP_4)
	v_add_f64 v[42:43], v[42:43], v[62:63]
	v_mul_f64 v[60:61], v[100:101], s[22:23]
	v_mul_f64 v[62:63], v[94:95], s[22:23]
	v_add_f64 v[40:41], v[44:45], v[40:41]
	s_delay_alu instid0(VALU_DEP_4) | instskip(NEXT) | instid1(VALU_DEP_4)
	v_add_f64 v[42:43], v[46:47], v[42:43]
	v_add_f64 v[60:61], v[60:61], -v[195:196]
	v_mul_f64 v[44:45], v[118:119], s[4:5]
	v_mul_f64 v[46:47], v[108:109], s[4:5]
	v_add_f64 v[62:63], v[62:63], -v[211:212]
	v_add_f64 v[40:41], v[50:51], v[40:41]
	v_add_f64 v[42:43], v[52:53], v[42:43]
	v_mul_f64 v[52:53], v[86:87], s[4:5]
	v_add_f64 v[44:45], v[209:210], v[44:45]
	v_add_f64 v[46:47], v[46:47], -v[199:200]
	v_add_f64 v[40:41], v[64:65], v[40:41]
	v_add_f64 v[50:51], v[60:61], v[42:43]
	v_add_f64 v[52:53], v[52:53], -v[205:206]
	v_mul_f64 v[60:61], v[104:105], s[22:23]
	v_mul_f64 v[64:65], v[112:113], s[6:7]
	v_add_f64 v[42:43], v[44:45], v[40:41]
	v_add_f64 v[40:41], v[46:47], v[50:51]
	v_mul_f64 v[44:45], v[82:83], s[16:17]
	v_mul_f64 v[46:47], v[72:73], s[16:17]
	;; [unrolled: 1-line block ×3, first 2 shown]
	v_add_f64 v[60:61], v[219:220], v[60:61]
	v_add_f64 v[64:65], v[223:224], v[64:65]
	;; [unrolled: 1-line block ×3, first 2 shown]
	v_add_f64 v[46:47], v[46:47], -v[201:202]
	v_add_f64 v[50:51], v[217:218], v[50:51]
	s_delay_alu instid0(VALU_DEP_3) | instskip(NEXT) | instid1(VALU_DEP_3)
	v_add_f64 v[44:45], v[44:45], v[56:57]
	v_add_f64 v[46:47], v[46:47], v[58:59]
	v_mul_f64 v[56:57], v[100:101], s[6:7]
	v_mul_f64 v[58:59], v[86:87], s[16:17]
	s_delay_alu instid0(VALU_DEP_4) | instskip(NEXT) | instid1(VALU_DEP_4)
	v_add_f64 v[44:45], v[50:51], v[44:45]
	v_add_f64 v[46:47], v[52:53], v[46:47]
	s_delay_alu instid0(VALU_DEP_4)
	v_add_f64 v[56:57], v[56:57], -v[213:214]
	v_mul_f64 v[50:51], v[118:119], s[18:19]
	v_mul_f64 v[52:53], v[108:109], s[18:19]
	v_add_f64 v[58:59], v[58:59], -v[88:89]
	v_add_f64 v[44:45], v[60:61], v[44:45]
	v_add_f64 v[46:47], v[62:63], v[46:47]
	v_mul_f64 v[60:61], v[104:105], s[18:19]
	v_add_f64 v[50:51], v[221:222], v[50:51]
	v_add_f64 v[52:53], v[52:53], -v[207:208]
	v_mul_f64 v[62:63], v[94:95], s[18:19]
	v_add_f64 v[44:45], v[64:65], v[44:45]
	v_add_f64 v[56:57], v[56:57], v[46:47]
	v_add_f64 v[60:61], v[106:107], v[60:61]
	v_mul_f64 v[64:65], v[112:113], s[20:21]
	v_add_f64 v[62:63], v[62:63], -v[96:97]
	v_add_f64 v[46:47], v[50:51], v[44:45]
	v_add_f64 v[44:45], v[52:53], v[56:57]
	v_mul_f64 v[50:51], v[82:83], s[4:5]
	v_mul_f64 v[52:53], v[72:73], s[4:5]
	;; [unrolled: 1-line block ×3, first 2 shown]
	v_add_f64 v[64:65], v[114:115], v[64:65]
	s_delay_alu instid0(VALU_DEP_4) | instskip(NEXT) | instid1(VALU_DEP_4)
	v_add_f64 v[50:51], v[84:85], v[50:51]
	v_add_f64 v[52:53], v[52:53], -v[74:75]
	s_delay_alu instid0(VALU_DEP_4) | instskip(NEXT) | instid1(VALU_DEP_3)
	v_add_f64 v[56:57], v[92:93], v[56:57]
	v_add_f64 v[48:49], v[50:51], v[48:49]
	s_delay_alu instid0(VALU_DEP_3) | instskip(SKIP_2) | instid1(VALU_DEP_4)
	v_add_f64 v[50:51], v[52:53], v[54:55]
	v_mul_f64 v[52:53], v[100:101], s[20:21]
	v_mul_f64 v[54:55], v[118:119], s[22:23]
	v_add_f64 v[48:49], v[56:57], v[48:49]
	s_delay_alu instid0(VALU_DEP_4) | instskip(NEXT) | instid1(VALU_DEP_4)
	v_add_f64 v[50:51], v[58:59], v[50:51]
	v_add_f64 v[52:53], v[52:53], -v[102:103]
	v_mul_f64 v[56:57], v[108:109], s[22:23]
	v_add_f64 v[54:55], v[120:121], v[54:55]
	v_add_f64 v[48:49], v[60:61], v[48:49]
	;; [unrolled: 1-line block ×3, first 2 shown]
	s_delay_alu instid0(VALU_DEP_4) | instskip(NEXT) | instid1(VALU_DEP_3)
	v_add_f64 v[56:57], v[56:57], -v[110:111]
	v_add_f64 v[48:49], v[64:65], v[48:49]
	s_delay_alu instid0(VALU_DEP_3) | instskip(NEXT) | instid1(VALU_DEP_2)
	v_add_f64 v[52:53], v[52:53], v[50:51]
	v_add_f64 v[50:51], v[54:55], v[48:49]
	s_delay_alu instid0(VALU_DEP_2) | instskip(SKIP_1) | instid1(VALU_DEP_1)
	v_add_f64 v[48:49], v[56:57], v[52:53]
	v_and_b32_e32 v52, 0xffff, v242
	v_lshlrev_b32_e32 v52, 4, v52
	ds_store_b128 v52, v[32:35] offset:32
	ds_store_b128 v52, v[36:39] offset:48
	;; [unrolled: 1-line block ×11, first 2 shown]
	ds_store_b128 v52, v[24:27]
	ds_store_b128 v52, v[0:3] offset:192
.LBB0_7:
	s_or_b32 exec_lo, exec_lo, s33
	v_add_co_u32 v52, null, 0xd0, v241
	v_add_nc_u32_e32 v76, 0x1a0, v241
	v_and_b32_e32 v20, 0xff, v241
	v_add_nc_u32_e32 v77, 0x270, v241
	s_delay_alu instid0(VALU_DEP_4)
	v_and_b32_e32 v21, 0xffff, v52
	s_load_b128 s[4:7], s[2:3], 0x0
	v_and_b32_e32 v22, 0xffff, v76
	v_mul_lo_u16 v54, 0x4f, v20
	v_and_b32_e32 v20, 0xffff, v77
	v_mul_u32_u24_e32 v53, 0x4ec5, v21
	s_waitcnt lgkmcnt(0)
	v_mul_u32_u24_e32 v79, 0x4ec5, v22
	v_lshrrev_b16 v71, 10, v54
	v_mul_u32_u24_e32 v78, 0x4ec5, v20
	v_lshrrev_b32_e32 v72, 18, v53
	s_barrier
	v_lshrrev_b32_e32 v73, 18, v79
	v_mul_lo_u16 v20, v71, 13
	v_lshrrev_b32_e32 v74, 18, v78
	v_mul_lo_u16 v21, v72, 13
	buffer_gl0_inv
	v_mul_lo_u16 v22, v73, 13
	v_sub_nc_u16 v20, v241, v20
	v_mul_lo_u16 v23, v74, 13
	v_sub_nc_u16 v75, v52, v21
	v_and_b32_e32 v36, 0xffff, v241
	v_sub_nc_u16 v80, v76, v22
	v_and_b32_e32 v81, 0xff, v20
	;; [unrolled: 2-line block ×3, first 2 shown]
	v_lshlrev_b32_e32 v149, 4, v36
	v_and_b32_e32 v21, 0xffff, v80
	v_lshlrev_b32_e32 v22, 4, v81
	v_and_b32_e32 v23, 0xffff, v82
	v_lshlrev_b32_e32 v20, 4, v20
	v_lshrrev_b16 v92, 11, v54
	v_lshlrev_b32_e32 v21, 4, v21
	global_load_b128 v[218:221], v22, s[0:1]
	v_lshlrev_b32_e32 v22, 4, v23
	s_clause 0x2
	global_load_b128 v[222:225], v20, s[0:1]
	global_load_b128 v[214:217], v21, s[0:1]
	;; [unrolled: 1-line block ×3, first 2 shown]
	ds_load_b128 v[36:39], v149 offset:13312
	ds_load_b128 v[40:43], v149 offset:16640
	;; [unrolled: 1-line block ×4, first 2 shown]
	v_and_b32_e32 v71, 0xffff, v71
	v_lshrrev_b32_e32 v93, 19, v53
	v_mul_lo_u16 v83, v92, 26
	v_lshrrev_b32_e32 v94, 19, v79
	v_lshrrev_b32_e32 v95, 19, v78
	v_mul_u32_u24_e32 v71, 26, v71
	v_mul_lo_u16 v84, v93, 26
	v_sub_nc_u16 v83, v241, v83
	v_mul_lo_u16 v85, v94, 26
	v_mul_lo_u16 v86, v95, 26
	v_add_lshl_u32 v157, v71, v81, 4
	v_mad_u16 v71, v72, 26, v75
	v_sub_nc_u16 v97, v52, v84
	v_mad_u16 v72, v73, 26, v80
	v_and_b32_e32 v96, 0xff, v83
	v_sub_nc_u16 v98, v76, v85
	v_mad_u16 v73, v74, 26, v82
	v_sub_nc_u16 v99, v77, v86
	v_and_b32_e32 v71, 0xffff, v71
	v_and_b32_e32 v75, 0xffff, v97
	;; [unrolled: 1-line block ×3, first 2 shown]
	v_lshlrev_b32_e32 v74, 4, v96
	v_and_b32_e32 v80, 0xffff, v98
	v_and_b32_e32 v73, 0xffff, v73
	;; [unrolled: 1-line block ×3, first 2 shown]
	v_lshlrev_b32_e32 v159, 4, v71
	v_lshlrev_b32_e32 v75, 4, v75
	;; [unrolled: 1-line block ×5, first 2 shown]
	v_lshrrev_b16 v128, 12, v54
	v_lshrrev_b32_e32 v129, 20, v53
	v_and_b32_e32 v53, 0xffff, v92
	v_lshrrev_b32_e32 v79, 22, v79
	v_lshrrev_b32_e32 v78, 22, v78
	s_delay_alu instid0(VALU_DEP_3) | instskip(NEXT) | instid1(VALU_DEP_3)
	v_mul_u32_u24_e32 v53, 52, v53
	v_mul_lo_u16 v79, 0xd0, v79
	s_delay_alu instid0(VALU_DEP_3) | instskip(NEXT) | instid1(VALU_DEP_3)
	v_mul_lo_u16 v78, 0xd0, v78
	v_add_lshl_u32 v230, v53, v96, 4
	s_delay_alu instid0(VALU_DEP_3) | instskip(NEXT) | instid1(VALU_DEP_3)
	v_sub_nc_u16 v76, v76, v79
	v_sub_nc_u16 v77, v77, v78
	s_delay_alu instid0(VALU_DEP_2) | instskip(NEXT) | instid1(VALU_DEP_2)
	v_and_b32_e32 v76, 0xffff, v76
	v_and_b32_e32 v77, 0xffff, v77
	s_waitcnt vmcnt(3) lgkmcnt(3)
	v_mul_f64 v[55:56], v[38:39], v[220:221]
	v_mul_f64 v[57:58], v[36:37], v[220:221]
	s_waitcnt vmcnt(2) lgkmcnt(2)
	v_mul_f64 v[59:60], v[42:43], v[224:225]
	v_mul_f64 v[61:62], v[40:41], v[224:225]
	;; [unrolled: 3-line block ×4, first 2 shown]
	v_fma_f64 v[55:56], v[36:37], v[218:219], -v[55:56]
	v_fma_f64 v[57:58], v[38:39], v[218:219], v[57:58]
	v_fma_f64 v[59:60], v[40:41], v[222:223], -v[59:60]
	v_fma_f64 v[61:62], v[42:43], v[222:223], v[61:62]
	;; [unrolled: 2-line block ×4, first 2 shown]
	ds_load_b128 v[36:39], v149
	ds_load_b128 v[40:43], v149 offset:3328
	ds_load_b128 v[44:47], v149 offset:6656
	;; [unrolled: 1-line block ×3, first 2 shown]
	s_waitcnt lgkmcnt(0)
	s_barrier
	buffer_gl0_inv
	v_add_f64 v[55:56], v[36:37], -v[55:56]
	v_add_f64 v[57:58], v[38:39], -v[57:58]
	;; [unrolled: 1-line block ×8, first 2 shown]
	v_fma_f64 v[36:37], v[36:37], 2.0, -v[55:56]
	v_fma_f64 v[38:39], v[38:39], 2.0, -v[57:58]
	;; [unrolled: 1-line block ×8, first 2 shown]
	ds_store_b128 v157, v[36:39]
	ds_store_b128 v157, v[55:58] offset:208
	ds_store_b128 v159, v[40:43]
	ds_store_b128 v159, v[59:62] offset:208
	;; [unrolled: 2-line block ×4, first 2 shown]
	s_waitcnt lgkmcnt(0)
	s_barrier
	buffer_gl0_inv
	global_load_b128 v[44:47], v74, s[0:1] offset:208
	v_lshlrev_b32_e32 v36, 4, v81
	s_clause 0x2
	global_load_b128 v[48:51], v75, s[0:1] offset:208
	global_load_b128 v[40:43], v80, s[0:1] offset:208
	global_load_b128 v[36:39], v36, s[0:1] offset:208
	ds_load_b128 v[55:58], v149 offset:13312
	ds_load_b128 v[59:62], v149 offset:16640
	;; [unrolled: 1-line block ×4, first 2 shown]
	v_mul_lo_u16 v75, v129, 52
	s_delay_alu instid0(VALU_DEP_1) | instskip(SKIP_2) | instid1(VALU_DEP_3)
	v_sub_nc_u16 v131, v52, v75
	v_mad_u16 v52, v93, 52, v97
	v_mad_u16 v75, v95, 52, v99
	v_mul_lo_u16 v92, v131, 48
	s_delay_alu instid0(VALU_DEP_3) | instskip(NEXT) | instid1(VALU_DEP_3)
	v_and_b32_e32 v93, 0xffff, v52
	v_and_b32_e32 v75, 0xffff, v75
	v_mad_u16 v79, 0xd0, v129, v131
	s_delay_alu instid0(VALU_DEP_4) | instskip(NEXT) | instid1(VALU_DEP_4)
	v_and_b32_e32 v92, 0xffff, v92
	v_lshlrev_b32_e32 v161, 4, v93
	s_delay_alu instid0(VALU_DEP_4) | instskip(NEXT) | instid1(VALU_DEP_4)
	v_lshlrev_b32_e32 v75, 4, v75
	v_and_b32_e32 v78, 0xffff, v79
	s_waitcnt vmcnt(3) lgkmcnt(3)
	v_mul_f64 v[71:72], v[57:58], v[46:47]
	v_mul_f64 v[73:74], v[55:56], v[46:47]
	s_waitcnt vmcnt(2) lgkmcnt(2)
	v_mul_f64 v[80:81], v[61:62], v[50:51]
	v_mul_f64 v[82:83], v[59:60], v[50:51]
	;; [unrolled: 3-line block ×4, first 2 shown]
	v_fma_f64 v[71:72], v[55:56], v[44:45], -v[71:72]
	v_fma_f64 v[73:74], v[57:58], v[44:45], v[73:74]
	v_fma_f64 v[80:81], v[59:60], v[48:49], -v[80:81]
	v_fma_f64 v[82:83], v[61:62], v[48:49], v[82:83]
	;; [unrolled: 2-line block ×4, first 2 shown]
	ds_load_b128 v[55:58], v149
	ds_load_b128 v[59:62], v149 offset:3328
	ds_load_b128 v[63:66], v149 offset:6656
	;; [unrolled: 1-line block ×3, first 2 shown]
	s_waitcnt lgkmcnt(0)
	s_barrier
	buffer_gl0_inv
	v_add_f64 v[71:72], v[55:56], -v[71:72]
	v_add_f64 v[73:74], v[57:58], -v[73:74]
	v_add_f64 v[80:81], v[59:60], -v[80:81]
	v_add_f64 v[82:83], v[61:62], -v[82:83]
	v_add_f64 v[84:85], v[63:64], -v[84:85]
	v_add_f64 v[86:87], v[65:66], -v[86:87]
	v_add_f64 v[88:89], v[67:68], -v[88:89]
	v_add_f64 v[90:91], v[69:70], -v[90:91]
	v_fma_f64 v[54:55], v[55:56], 2.0, -v[71:72]
	v_fma_f64 v[56:57], v[57:58], 2.0, -v[73:74]
	;; [unrolled: 1-line block ×8, first 2 shown]
	v_mul_lo_u16 v70, v128, 52
	s_delay_alu instid0(VALU_DEP_1) | instskip(NEXT) | instid1(VALU_DEP_1)
	v_sub_nc_u16 v70, v241, v70
	v_and_b32_e32 v130, 0xff, v70
	v_mad_u16 v70, v94, 52, v98
	s_delay_alu instid0(VALU_DEP_2) | instskip(NEXT) | instid1(VALU_DEP_2)
	v_mad_u64_u32 v[52:53], null, v130, 48, s[0:1]
	v_and_b32_e32 v70, 0xffff, v70
	s_delay_alu instid0(VALU_DEP_1)
	v_lshlrev_b32_e32 v160, 4, v70
	ds_store_b128 v230, v[54:57]
	ds_store_b128 v230, v[71:74] offset:416
	ds_store_b128 v161, v[58:61]
	ds_store_b128 v161, v[80:83] offset:416
	;; [unrolled: 2-line block ×4, first 2 shown]
	v_add_co_u32 v64, s2, s0, v92
	s_delay_alu instid0(VALU_DEP_1)
	v_add_co_ci_u32_e64 v65, null, s1, 0, s2
	s_waitcnt lgkmcnt(0)
	s_barrier
	buffer_gl0_inv
	s_clause 0x5
	global_load_b128 v[56:59], v[52:53], off offset:624
	global_load_b128 v[232:235], v[52:53], off offset:640
	;; [unrolled: 1-line block ×6, first 2 shown]
	ds_load_b128 v[80:83], v149 offset:6656
	ds_load_b128 v[84:87], v149 offset:13312
	;; [unrolled: 1-line block ×6, first 2 shown]
	v_lshlrev_b32_e32 v74, 4, v78
	v_lshlrev_b32_e32 v60, 4, v76
	v_lshlrev_b32_e32 v65, 4, v77
	s_waitcnt vmcnt(4) lgkmcnt(4)
	v_mul_f64 v[108:109], v[86:87], v[234:235]
	v_mul_f64 v[110:111], v[84:85], v[234:235]
	s_waitcnt vmcnt(3) lgkmcnt(3)
	v_mul_f64 v[112:113], v[90:91], v[54:55]
	v_mul_f64 v[104:105], v[82:83], v[58:59]
	;; [unrolled: 1-line block ×4, first 2 shown]
	s_waitcnt vmcnt(2) lgkmcnt(2)
	v_mul_f64 v[116:117], v[94:95], v[72:73]
	v_mul_f64 v[118:119], v[92:93], v[72:73]
	s_waitcnt vmcnt(1) lgkmcnt(1)
	v_mul_f64 v[120:121], v[98:99], v[68:69]
	v_mul_f64 v[122:123], v[96:97], v[68:69]
	;; [unrolled: 3-line block ×3, first 2 shown]
	v_fma_f64 v[108:109], v[84:85], v[232:233], -v[108:109]
	v_fma_f64 v[110:111], v[86:87], v[232:233], v[110:111]
	v_fma_f64 v[88:89], v[88:89], v[52:53], -v[112:113]
	v_fma_f64 v[104:105], v[80:81], v[56:57], -v[104:105]
	v_fma_f64 v[106:107], v[82:83], v[56:57], v[106:107]
	v_fma_f64 v[90:91], v[90:91], v[52:53], v[114:115]
	v_fma_f64 v[92:93], v[92:93], v[70:71], -v[116:117]
	v_fma_f64 v[94:95], v[94:95], v[70:71], v[118:119]
	v_fma_f64 v[96:97], v[96:97], v[66:67], -v[120:121]
	;; [unrolled: 2-line block ×3, first 2 shown]
	v_fma_f64 v[102:103], v[102:103], v[226:227], v[126:127]
	ds_load_b128 v[80:83], v149
	ds_load_b128 v[84:87], v149 offset:3328
	s_waitcnt lgkmcnt(0)
	s_barrier
	buffer_gl0_inv
	v_add_f64 v[108:109], v[80:81], -v[108:109]
	v_add_f64 v[110:111], v[82:83], -v[110:111]
	;; [unrolled: 1-line block ×8, first 2 shown]
	v_fma_f64 v[102:103], v[80:81], 2.0, -v[108:109]
	v_fma_f64 v[116:117], v[82:83], 2.0, -v[110:111]
	;; [unrolled: 1-line block ×3, first 2 shown]
	v_add_f64 v[82:83], v[110:111], v[88:89]
	v_fma_f64 v[104:105], v[106:107], 2.0, -v[90:91]
	v_add_f64 v[80:81], v[108:109], -v[90:91]
	v_fma_f64 v[118:119], v[84:85], 2.0, -v[112:113]
	v_fma_f64 v[120:121], v[86:87], 2.0, -v[114:115]
	;; [unrolled: 1-line block ×4, first 2 shown]
	v_add_f64 v[84:85], v[112:113], -v[98:99]
	v_add_f64 v[88:89], v[102:103], -v[100:101]
	v_fma_f64 v[98:99], v[110:111], 2.0, -v[82:83]
	v_add_f64 v[90:91], v[116:117], -v[104:105]
	v_add_f64 v[92:93], v[118:119], -v[86:87]
	;; [unrolled: 1-line block ×3, first 2 shown]
	v_add_f64 v[86:87], v[114:115], v[96:97]
	v_fma_f64 v[96:97], v[108:109], 2.0, -v[80:81]
	v_fma_f64 v[100:101], v[112:113], 2.0, -v[84:85]
	v_and_b32_e32 v112, 0xffff, v128
	s_delay_alu instid0(VALU_DEP_1) | instskip(NEXT) | instid1(VALU_DEP_1)
	v_mul_u32_u24_e32 v112, 0xd0, v112
	v_add_lshl_u32 v231, v112, v130, 4
	v_fma_f64 v[104:105], v[102:103], 2.0, -v[88:89]
	v_fma_f64 v[106:107], v[116:117], 2.0, -v[90:91]
	;; [unrolled: 1-line block ×5, first 2 shown]
	v_lshlrev_b32_e32 v120, 4, v241
	ds_store_b128 v231, v[88:91] offset:1664
	ds_store_b128 v231, v[80:83] offset:2496
	ds_store_b128 v231, v[104:107]
	ds_store_b128 v231, v[96:99] offset:832
	ds_store_b128 v74, v[108:111]
	ds_store_b128 v74, v[100:103] offset:832
	ds_store_b128 v74, v[92:95] offset:1664
	;; [unrolled: 1-line block ×3, first 2 shown]
	s_waitcnt lgkmcnt(0)
	s_barrier
	buffer_gl0_inv
	s_clause 0x2
	global_load_b128 v[80:83], v120, s[0:1] offset:3120
	global_load_b128 v[84:87], v60, s[0:1] offset:3120
	;; [unrolled: 1-line block ×3, first 2 shown]
	ds_load_b128 v[88:91], v149 offset:13312
	ds_load_b128 v[92:95], v149 offset:16640
	;; [unrolled: 1-line block ×4, first 2 shown]
	v_add_co_u32 v132, s0, s0, v120
	s_delay_alu instid0(VALU_DEP_1) | instskip(NEXT) | instid1(VALU_DEP_2)
	v_add_co_ci_u32_e64 v133, null, s1, 0, s0
	v_add_co_u32 v120, s0, 0x1000, v132
	s_delay_alu instid0(VALU_DEP_1) | instskip(SKIP_1) | instid1(VALU_DEP_1)
	v_add_co_ci_u32_e64 v121, s0, 0, v133, s0
	v_add_co_u32 v122, s0, 0x2000, v132
	v_add_co_ci_u32_e64 v123, s0, 0, v133, s0
	v_add_co_u32 v128, s0, 0x3000, v132
	s_delay_alu instid0(VALU_DEP_1) | instskip(SKIP_1) | instid1(VALU_DEP_1)
	v_add_co_ci_u32_e64 v129, s0, 0, v133, s0
	v_add_co_u32 v130, s0, 0x4000, v132
	v_add_co_ci_u32_e64 v131, s0, 0, v133, s0
	s_waitcnt vmcnt(1) lgkmcnt(1)
	v_mul_f64 v[112:113], v[98:99], v[86:87]
	v_mul_f64 v[104:105], v[90:91], v[82:83]
	;; [unrolled: 1-line block ×6, first 2 shown]
	s_waitcnt vmcnt(0) lgkmcnt(0)
	v_mul_f64 v[116:117], v[102:103], v[78:79]
	v_mul_f64 v[118:119], v[100:101], v[78:79]
	v_fma_f64 v[112:113], v[96:97], v[84:85], -v[112:113]
	v_fma_f64 v[104:105], v[88:89], v[80:81], -v[104:105]
	v_fma_f64 v[106:107], v[90:91], v[80:81], v[106:107]
	v_fma_f64 v[108:109], v[92:93], v[80:81], -v[108:109]
	v_fma_f64 v[110:111], v[94:95], v[80:81], v[110:111]
	v_fma_f64 v[114:115], v[98:99], v[84:85], v[114:115]
	v_fma_f64 v[116:117], v[100:101], v[76:77], -v[116:117]
	v_fma_f64 v[118:119], v[102:103], v[76:77], v[118:119]
	ds_load_b128 v[88:91], v149
	ds_load_b128 v[92:95], v149 offset:3328
	ds_load_b128 v[96:99], v149 offset:6656
	;; [unrolled: 1-line block ×3, first 2 shown]
	s_waitcnt lgkmcnt(0)
	s_barrier
	buffer_gl0_inv
	v_add_f64 v[112:113], v[96:97], -v[112:113]
	v_add_f64 v[104:105], v[88:89], -v[104:105]
	;; [unrolled: 1-line block ×8, first 2 shown]
	v_fma_f64 v[96:97], v[96:97], 2.0, -v[112:113]
	v_fma_f64 v[88:89], v[88:89], 2.0, -v[104:105]
	;; [unrolled: 1-line block ×8, first 2 shown]
	ds_store_b128 v149, v[88:91]
	ds_store_b128 v149, v[104:107] offset:3328
	ds_store_b128 v149, v[92:95] offset:6656
	;; [unrolled: 1-line block ×7, first 2 shown]
	s_waitcnt lgkmcnt(0)
	s_barrier
	buffer_gl0_inv
	s_clause 0x1
	global_load_b128 v[88:91], v[120:121], off offset:2352
	global_load_b128 v[92:95], v[122:123], off offset:1584
	ds_load_b128 v[96:99], v149 offset:13312
	ds_load_b128 v[100:103], v149 offset:16640
	;; [unrolled: 1-line block ×4, first 2 shown]
	s_waitcnt vmcnt(1) lgkmcnt(3)
	v_mul_f64 v[112:113], v[98:99], v[90:91]
	v_mul_f64 v[114:115], v[96:97], v[90:91]
	s_waitcnt vmcnt(0) lgkmcnt(2)
	v_mul_f64 v[116:117], v[102:103], v[94:95]
	v_mul_f64 v[118:119], v[100:101], v[94:95]
	s_waitcnt lgkmcnt(1)
	v_mul_f64 v[120:121], v[106:107], v[90:91]
	v_mul_f64 v[122:123], v[104:105], v[90:91]
	s_waitcnt lgkmcnt(0)
	v_mul_f64 v[124:125], v[110:111], v[94:95]
	v_mul_f64 v[126:127], v[108:109], v[94:95]
	v_fma_f64 v[112:113], v[96:97], v[88:89], -v[112:113]
	v_fma_f64 v[114:115], v[98:99], v[88:89], v[114:115]
	v_fma_f64 v[116:117], v[100:101], v[92:93], -v[116:117]
	v_fma_f64 v[118:119], v[102:103], v[92:93], v[118:119]
	;; [unrolled: 2-line block ×4, first 2 shown]
	ds_load_b128 v[96:99], v149
	ds_load_b128 v[100:103], v149 offset:3328
	ds_load_b128 v[104:107], v149 offset:6656
	;; [unrolled: 1-line block ×3, first 2 shown]
	s_waitcnt lgkmcnt(0)
	s_barrier
	buffer_gl0_inv
	v_add_f64 v[112:113], v[96:97], -v[112:113]
	v_add_f64 v[114:115], v[98:99], -v[114:115]
	;; [unrolled: 1-line block ×8, first 2 shown]
	v_fma_f64 v[96:97], v[96:97], 2.0, -v[112:113]
	v_fma_f64 v[98:99], v[98:99], 2.0, -v[114:115]
	;; [unrolled: 1-line block ×8, first 2 shown]
	ds_store_b128 v149, v[112:115] offset:6656
	ds_store_b128 v149, v[116:119] offset:9984
	;; [unrolled: 1-line block ×4, first 2 shown]
	ds_store_b128 v149, v[96:99]
	ds_store_b128 v149, v[100:103] offset:3328
	ds_store_b128 v149, v[104:107] offset:13312
	;; [unrolled: 1-line block ×3, first 2 shown]
	v_add_co_u32 v108, s0, 0x5000, v132
	s_delay_alu instid0(VALU_DEP_1)
	v_add_co_ci_u32_e64 v109, s0, 0, v133, s0
	s_waitcnt lgkmcnt(0)
	s_barrier
	buffer_gl0_inv
	s_clause 0x3
	global_load_b128 v[96:99], v[128:129], off offset:816
	global_load_b128 v[104:107], v[130:131], off offset:48
	;; [unrolled: 1-line block ×4, first 2 shown]
	ds_load_b128 v[112:115], v149 offset:13312
	ds_load_b128 v[116:119], v149 offset:16640
	ds_load_b128 v[120:123], v149 offset:19968
	ds_load_b128 v[124:127], v149 offset:23296
	s_waitcnt vmcnt(2) lgkmcnt(2)
	v_mul_f64 v[132:133], v[118:119], v[106:107]
	v_mul_f64 v[128:129], v[114:115], v[98:99]
	;; [unrolled: 1-line block ×4, first 2 shown]
	s_waitcnt vmcnt(1) lgkmcnt(1)
	v_mul_f64 v[136:137], v[122:123], v[102:103]
	v_mul_f64 v[138:139], v[120:121], v[102:103]
	s_waitcnt vmcnt(0) lgkmcnt(0)
	v_mul_f64 v[140:141], v[126:127], v[110:111]
	v_mul_f64 v[142:143], v[124:125], v[110:111]
	v_fma_f64 v[132:133], v[116:117], v[104:105], -v[132:133]
	v_fma_f64 v[145:146], v[112:113], v[96:97], -v[128:129]
	v_fma_f64 v[147:148], v[114:115], v[96:97], v[130:131]
	v_fma_f64 v[134:135], v[118:119], v[104:105], v[134:135]
	v_fma_f64 v[136:137], v[120:121], v[100:101], -v[136:137]
	v_fma_f64 v[138:139], v[122:123], v[100:101], v[138:139]
	v_fma_f64 v[162:163], v[124:125], v[108:109], -v[140:141]
	v_fma_f64 v[164:165], v[126:127], v[108:109], v[142:143]
	ds_load_b128 v[112:115], v149
	ds_load_b128 v[120:123], v149 offset:3328
	ds_load_b128 v[128:131], v149 offset:6656
	;; [unrolled: 1-line block ×3, first 2 shown]
	s_waitcnt lgkmcnt(2)
	v_add_f64 v[124:125], v[120:121], -v[132:133]
	v_add_f64 v[116:117], v[112:113], -v[145:146]
	;; [unrolled: 1-line block ×4, first 2 shown]
	s_waitcnt lgkmcnt(1)
	v_add_f64 v[132:133], v[128:129], -v[136:137]
	v_add_f64 v[134:135], v[130:131], -v[138:139]
	s_waitcnt lgkmcnt(0)
	v_add_f64 v[136:137], v[140:141], -v[162:163]
	v_add_f64 v[138:139], v[142:143], -v[164:165]
	v_fma_f64 v[120:121], v[120:121], 2.0, -v[124:125]
	v_fma_f64 v[112:113], v[112:113], 2.0, -v[116:117]
	;; [unrolled: 1-line block ×8, first 2 shown]
	ds_store_b128 v149, v[116:119] offset:13312
	ds_store_b128 v149, v[124:127] offset:16640
	;; [unrolled: 1-line block ×4, first 2 shown]
	ds_store_b128 v149, v[112:115]
	ds_store_b128 v149, v[120:123] offset:3328
	ds_store_b128 v149, v[128:131] offset:6656
	;; [unrolled: 1-line block ×3, first 2 shown]
	s_waitcnt lgkmcnt(0)
	s_barrier
	buffer_gl0_inv
	s_and_saveexec_b32 s2, vcc_lo
	s_cbranch_execz .LBB0_9
; %bb.8:
	s_add_u32 s0, s12, 0x6800
	s_addc_u32 s1, s13, 0
	v_or_b32_e32 v150, 0x1000, v254
	s_clause 0x1
	global_load_b128 v[145:148], v254, s[0:1]
	global_load_b128 v[162:165], v254, s[0:1] offset:2048
	ds_load_b128 v[182:185], v149
	v_or_b32_e32 v151, 0x5800, v254
	global_load_b128 v[166:169], v150, s[0:1]
	v_or_b32_e32 v150, 0x1800, v254
	global_load_b128 v[170:173], v150, s[0:1]
	;; [unrolled: 2-line block ×6, first 2 shown]
	v_or_b32_e32 v150, 0x4000, v254
	s_waitcnt vmcnt(7) lgkmcnt(0)
	v_mul_f64 v[194:195], v[184:185], v[147:148]
	v_mul_f64 v[147:148], v[182:183], v[147:148]
	s_delay_alu instid0(VALU_DEP_2) | instskip(NEXT) | instid1(VALU_DEP_2)
	v_fma_f64 v[182:183], v[182:183], v[145:146], -v[194:195]
	v_fma_f64 v[184:185], v[184:185], v[145:146], v[147:148]
	ds_store_b128 v149, v[182:185]
	ds_load_b128 v[145:148], v254 offset:2048
	ds_load_b128 v[182:185], v254 offset:4096
	s_waitcnt vmcnt(6) lgkmcnt(1)
	v_mul_f64 v[194:195], v[147:148], v[164:165]
	v_mul_f64 v[164:165], v[145:146], v[164:165]
	s_delay_alu instid0(VALU_DEP_2) | instskip(SKIP_3) | instid1(VALU_DEP_4)
	v_fma_f64 v[145:146], v[145:146], v[162:163], -v[194:195]
	s_waitcnt vmcnt(5) lgkmcnt(0)
	v_mul_f64 v[194:195], v[184:185], v[168:169]
	v_mul_f64 v[168:169], v[182:183], v[168:169]
	v_fma_f64 v[147:148], v[147:148], v[162:163], v[164:165]
	ds_load_b128 v[162:165], v254 offset:6144
	v_fma_f64 v[182:183], v[182:183], v[166:167], -v[194:195]
	v_fma_f64 v[184:185], v[184:185], v[166:167], v[168:169]
	ds_load_b128 v[166:169], v254 offset:8192
	s_waitcnt vmcnt(4) lgkmcnt(1)
	v_mul_f64 v[194:195], v[164:165], v[172:173]
	v_mul_f64 v[172:173], v[162:163], v[172:173]
	s_delay_alu instid0(VALU_DEP_2) | instskip(SKIP_3) | instid1(VALU_DEP_4)
	v_fma_f64 v[162:163], v[162:163], v[170:171], -v[194:195]
	s_waitcnt vmcnt(3) lgkmcnt(0)
	v_mul_f64 v[194:195], v[168:169], v[176:177]
	v_mul_f64 v[176:177], v[166:167], v[176:177]
	v_fma_f64 v[164:165], v[164:165], v[170:171], v[172:173]
	ds_load_b128 v[170:173], v254 offset:10240
	v_fma_f64 v[166:167], v[166:167], v[174:175], -v[194:195]
	v_fma_f64 v[168:169], v[168:169], v[174:175], v[176:177]
	;; [unrolled: 13-line block ×3, first 2 shown]
	ds_load_b128 v[186:189], v254 offset:16384
	s_waitcnt vmcnt(0) lgkmcnt(1)
	v_mul_f64 v[194:195], v[180:181], v[192:193]
	v_mul_f64 v[192:193], v[178:179], v[192:193]
	s_delay_alu instid0(VALU_DEP_2) | instskip(NEXT) | instid1(VALU_DEP_2)
	v_fma_f64 v[178:179], v[178:179], v[190:191], -v[194:195]
	v_fma_f64 v[180:181], v[180:181], v[190:191], v[192:193]
	global_load_b128 v[190:193], v150, s[0:1]
	v_or_b32_e32 v150, 0x4800, v254
	global_load_b128 v[194:197], v150, s[0:1]
	v_or_b32_e32 v150, 0x5000, v254
	s_waitcnt vmcnt(1) lgkmcnt(0)
	v_mul_f64 v[198:199], v[188:189], v[192:193]
	v_mul_f64 v[192:193], v[186:187], v[192:193]
	s_delay_alu instid0(VALU_DEP_2) | instskip(NEXT) | instid1(VALU_DEP_2)
	v_fma_f64 v[186:187], v[186:187], v[190:191], -v[198:199]
	v_fma_f64 v[188:189], v[188:189], v[190:191], v[192:193]
	ds_load_b128 v[190:193], v254 offset:18432
	ds_load_b128 v[198:201], v254 offset:20480
	s_waitcnt vmcnt(0) lgkmcnt(1)
	v_mul_f64 v[202:203], v[192:193], v[196:197]
	v_mul_f64 v[196:197], v[190:191], v[196:197]
	s_delay_alu instid0(VALU_DEP_2) | instskip(NEXT) | instid1(VALU_DEP_2)
	v_fma_f64 v[190:191], v[190:191], v[194:195], -v[202:203]
	v_fma_f64 v[192:193], v[192:193], v[194:195], v[196:197]
	s_clause 0x1
	global_load_b128 v[194:197], v150, s[0:1]
	global_load_b128 v[202:205], v151, s[0:1]
	v_or_b32_e32 v150, 0x6000, v254
	s_waitcnt vmcnt(1) lgkmcnt(0)
	v_mul_f64 v[206:207], v[200:201], v[196:197]
	v_mul_f64 v[208:209], v[198:199], v[196:197]
	s_delay_alu instid0(VALU_DEP_2) | instskip(NEXT) | instid1(VALU_DEP_2)
	v_fma_f64 v[196:197], v[198:199], v[194:195], -v[206:207]
	v_fma_f64 v[198:199], v[200:201], v[194:195], v[208:209]
	ds_load_b128 v[206:209], v254 offset:22528
	ds_load_b128 v[210:213], v254 offset:24576
	s_waitcnt vmcnt(0) lgkmcnt(1)
	v_mul_f64 v[194:195], v[208:209], v[204:205]
	v_mul_f64 v[204:205], v[206:207], v[204:205]
	s_delay_alu instid0(VALU_DEP_2) | instskip(NEXT) | instid1(VALU_DEP_2)
	v_fma_f64 v[200:201], v[206:207], v[202:203], -v[194:195]
	v_fma_f64 v[202:203], v[208:209], v[202:203], v[204:205]
	global_load_b128 v[204:207], v150, s[0:1]
	s_waitcnt vmcnt(0) lgkmcnt(0)
	v_mul_f64 v[194:195], v[212:213], v[206:207]
	v_mul_f64 v[208:209], v[210:211], v[206:207]
	s_delay_alu instid0(VALU_DEP_2) | instskip(NEXT) | instid1(VALU_DEP_2)
	v_fma_f64 v[206:207], v[210:211], v[204:205], -v[194:195]
	v_fma_f64 v[208:209], v[212:213], v[204:205], v[208:209]
	ds_store_b128 v254, v[145:148] offset:2048
	ds_store_b128 v254, v[182:185] offset:4096
	;; [unrolled: 1-line block ×12, first 2 shown]
.LBB0_9:
	s_or_b32 exec_lo, exec_lo, s2
	s_waitcnt lgkmcnt(0)
	s_barrier
	buffer_gl0_inv
	s_and_saveexec_b32 s0, vcc_lo
	s_cbranch_execz .LBB0_11
; %bb.10:
	ds_load_b128 v[112:115], v149
	ds_load_b128 v[116:119], v149 offset:2048
	ds_load_b128 v[120:123], v149 offset:4096
	;; [unrolled: 1-line block ×12, first 2 shown]
.LBB0_11:
	s_or_b32 exec_lo, exec_lo, s0
	s_waitcnt lgkmcnt(0)
	s_barrier
	buffer_gl0_inv
	s_and_saveexec_b32 s33, vcc_lo
	s_cbranch_execz .LBB0_13
; %bb.12:
	v_add_f64 v[145:146], v[114:115], v[118:119]
	v_add_f64 v[147:148], v[112:113], v[116:117]
	v_add_f64 v[170:171], v[128:129], -v[12:13]
	v_add_f64 v[172:173], v[130:131], -v[14:15]
	;; [unrolled: 1-line block ×3, first 2 shown]
	v_add_f64 v[176:177], v[126:127], v[10:11]
	v_add_f64 v[178:179], v[126:127], -v[10:11]
	v_add_f64 v[180:181], v[124:125], v[8:9]
	v_add_f64 v[182:183], v[120:121], -v[4:5]
	v_add_f64 v[184:185], v[122:123], -v[6:7]
	v_add_f64 v[186:187], v[6:7], v[122:123]
	v_add_f64 v[188:189], v[4:5], v[120:121]
	s_mov_b32 s36, 0x4267c47c
	s_mov_b32 s30, 0x66966769
	;; [unrolled: 1-line block ×25, first 2 shown]
	v_dual_mov_b32 v29, v104 :: v_dual_mov_b32 v30, v105
	v_add_f64 v[145:146], v[122:123], v[145:146]
	v_add_f64 v[147:148], v[120:121], v[147:148]
	v_dual_mov_b32 v31, v106 :: v_dual_mov_b32 v32, v107
	v_dual_mov_b32 v107, v99 :: v_dual_mov_b32 v106, v98
	;; [unrolled: 1-line block ×5, first 2 shown]
	v_mov_b32_e32 v79, v65
	v_mov_b32_e32 v65, v74
	v_dual_mov_b32 v25, v214 :: v_dual_mov_b32 v26, v215
	v_dual_mov_b32 v27, v216 :: v_dual_mov_b32 v28, v217
	v_mov_b32_e32 v21, v108
	v_mov_b32_e32 v23, v110
	s_mov_b32 s38, s2
	scratch_store_b128 off, v[218:221], off offset:12 ; 16-byte Folded Spill
	v_dual_mov_b32 v20, v255 :: v_dual_mov_b32 v255, v245
	v_mov_b32_e32 v240, v247
	v_mov_b32_e32 v22, v109
	;; [unrolled: 1-line block ×3, first 2 shown]
	v_dual_mov_b32 v111, v103 :: v_dual_mov_b32 v110, v102
	v_dual_mov_b32 v109, v101 :: v_dual_mov_b32 v108, v100
	;; [unrolled: 1-line block ×5, first 2 shown]
	v_mov_b32_e32 v84, v254
	v_add_f64 v[145:146], v[126:127], v[145:146]
	v_add_f64 v[147:148], v[124:125], v[147:148]
	v_dual_mov_b32 v254, v160 :: v_dual_mov_b32 v85, v161
	v_dual_mov_b32 v160, v248 :: v_dual_mov_b32 v161, v249
	s_delay_alu instid0(VALU_DEP_4) | instskip(NEXT) | instid1(VALU_DEP_4)
	v_add_f64 v[145:146], v[130:131], v[145:146]
	v_add_f64 v[147:148], v[128:129], v[147:148]
	s_delay_alu instid0(VALU_DEP_2) | instskip(NEXT) | instid1(VALU_DEP_2)
	v_add_f64 v[145:146], v[134:135], v[145:146]
	v_add_f64 v[147:148], v[132:133], v[147:148]
	s_delay_alu instid0(VALU_DEP_2) | instskip(NEXT) | instid1(VALU_DEP_2)
	v_add_f64 v[162:163], v[142:143], v[145:146]
	v_add_f64 v[164:165], v[140:141], v[147:148]
	v_add_f64 v[147:148], v[140:141], -v[136:137]
	v_add_f64 v[145:146], v[138:139], v[142:143]
	v_add_f64 v[142:143], v[142:143], -v[138:139]
	v_add_f64 v[140:141], v[136:137], v[140:141]
	v_add_f64 v[162:163], v[138:139], v[162:163]
	;; [unrolled: 1-line block ×3, first 2 shown]
	v_add_f64 v[138:139], v[132:133], -v[16:17]
	v_add_f64 v[136:137], v[18:19], v[134:135]
	v_add_f64 v[134:135], v[134:135], -v[18:19]
	v_add_f64 v[132:133], v[16:17], v[132:133]
	v_mul_f64 v[166:167], v[147:148], s[36:37]
	v_mul_f64 v[168:169], v[142:143], s[36:37]
	v_add_f64 v[162:163], v[18:19], v[162:163]
	v_add_f64 v[164:165], v[16:17], v[164:165]
	;; [unrolled: 1-line block ×4, first 2 shown]
	v_mul_f64 v[120:121], v[138:139], s[36:37]
	v_mul_f64 v[122:123], v[134:135], s[36:37]
	;; [unrolled: 1-line block ×4, first 2 shown]
	v_add_f64 v[14:15], v[14:15], v[162:163]
	v_add_f64 v[12:13], v[12:13], v[164:165]
	v_mul_f64 v[162:163], v[170:171], s[36:37]
	v_mul_f64 v[164:165], v[172:173], s[36:37]
	s_delay_alu instid0(VALU_DEP_4) | instskip(NEXT) | instid1(VALU_DEP_4)
	v_add_f64 v[10:11], v[10:11], v[14:15]
	v_add_f64 v[8:9], v[8:9], v[12:13]
	v_add_f64 v[12:13], v[2:3], v[118:119]
	v_add_f64 v[14:15], v[0:1], v[116:117]
	s_delay_alu instid0(VALU_DEP_4) | instskip(NEXT) | instid1(VALU_DEP_4)
	v_add_f64 v[6:7], v[6:7], v[10:11]
	v_add_f64 v[4:5], v[4:5], v[8:9]
	v_add_f64 v[8:9], v[116:117], -v[0:1]
	v_add_f64 v[10:11], v[118:119], -v[2:3]
	v_mul_f64 v[116:117], v[182:183], s[36:37]
	v_mul_f64 v[118:119], v[184:185], s[36:37]
	s_mov_b32 s37, 0xbfddbe06
	v_add_f64 v[2:3], v[2:3], v[6:7]
	v_add_f64 v[0:1], v[0:1], v[4:5]
	v_mul_f64 v[4:5], v[8:9], s[0:1]
	v_mul_f64 v[6:7], v[8:9], s[2:3]
	;; [unrolled: 1-line block ×10, first 2 shown]
	scratch_store_b128 off, v[0:3], off offset:44 ; 16-byte Folded Spill
	v_fma_f64 v[192:193], v[12:13], s[14:15], v[4:5]
	v_fma_f64 v[4:5], v[12:13], s[14:15], -v[4:5]
	v_fma_f64 v[194:195], v[12:13], s[16:17], v[6:7]
	v_fma_f64 v[6:7], v[12:13], s[16:17], -v[6:7]
	;; [unrolled: 2-line block ×6, first 2 shown]
	v_mul_f64 v[12:13], v[10:11], s[0:1]
	v_mul_f64 v[10:11], v[10:11], s[36:37]
	s_clause 0x1
	scratch_store_b32 off, v60, off offset:4
	scratch_store_b128 off, v[232:235], off offset:28
	v_mov_b32_e32 v60, v59
	v_mov_b32_e32 v59, v58
	;; [unrolled: 1-line block ×3, first 2 shown]
	v_dual_mov_b32 v57, v56 :: v_dual_mov_b32 v56, v55
	v_mov_b32_e32 v55, v54
	v_mov_b32_e32 v54, v53
	v_dual_mov_b32 v53, v52 :: v_dual_mov_b32 v52, v51
	v_mov_b32_e32 v51, v50
	v_mov_b32_e32 v50, v49
	;; [unrolled: 3-line block ×5, first 2 shown]
	v_mov_b32_e32 v37, v36
	v_dual_mov_b32 v33, v222 :: v_dual_mov_b32 v34, v223
	v_dual_mov_b32 v35, v224 :: v_dual_mov_b32 v36, v225
	v_add_f64 v[0:1], v[114:115], v[124:125]
	v_fma_f64 v[214:215], v[14:15], s[16:17], -v[204:205]
	v_fma_f64 v[204:205], v[14:15], s[16:17], v[204:205]
	v_fma_f64 v[216:217], v[14:15], s[18:19], -v[206:207]
	v_fma_f64 v[206:207], v[14:15], s[18:19], v[206:207]
	;; [unrolled: 2-line block ×3, first 2 shown]
	v_fma_f64 v[212:213], v[14:15], s[14:15], -v[12:13]
	v_fma_f64 v[222:223], v[14:15], s[28:29], -v[10:11]
	v_fma_f64 v[12:13], v[14:15], s[14:15], v[12:13]
	v_fma_f64 v[220:221], v[14:15], s[22:23], -v[210:211]
	v_fma_f64 v[210:211], v[14:15], s[22:23], v[210:211]
	v_fma_f64 v[10:11], v[14:15], s[28:29], v[10:11]
	v_add_f64 v[14:15], v[114:115], v[192:193]
	v_add_f64 v[224:225], v[114:115], v[6:7]
	v_fma_f64 v[6:7], v[188:189], s[28:29], -v[118:119]
	v_add_f64 v[124:125], v[114:115], v[126:127]
	v_fma_f64 v[118:119], v[188:189], s[28:29], v[118:119]
	v_add_f64 v[194:195], v[114:115], v[194:195]
	v_add_f64 v[196:197], v[114:115], v[196:197]
	;; [unrolled: 1-line block ×5, first 2 shown]
	v_mul_f64 v[232:233], v[147:148], s[30:31]
	v_mul_f64 v[234:235], v[142:143], s[30:31]
	s_mov_b32 s37, 0x3fcea1e5
	s_mov_b32 s36, s0
	v_dual_mov_b32 v3, v253 :: v_dual_mov_b32 v2, v252
	scratch_store_b64 off, v[0:1], off offset:76 ; 8-byte Folded Spill
	v_add_f64 v[214:215], v[112:113], v[214:215]
	v_add_f64 v[204:205], v[112:113], v[204:205]
	;; [unrolled: 1-line block ×8, first 2 shown]
	scratch_store_b32 off, v75, off offset:8 ; 4-byte Folded Spill
	v_dual_mov_b32 v78, v73 :: v_dual_mov_b32 v77, v72
	v_dual_mov_b32 v76, v71 :: v_dual_mov_b32 v75, v70
	;; [unrolled: 1-line block ×4, first 2 shown]
	v_mov_b32_e32 v67, v226
	v_add_f64 v[212:213], v[114:115], v[4:5]
	v_dual_mov_b32 v68, v227 :: v_dual_mov_b32 v69, v228
	v_mov_b32_e32 v70, v229
	v_add_f64 v[227:228], v[114:115], v[202:203]
	v_add_f64 v[202:203], v[114:115], v[8:9]
	v_fma_f64 v[4:5], v[186:187], s[28:29], v[116:117]
	v_mul_f64 v[8:9], v[174:175], s[2:3]
	v_add_f64 v[12:13], v[112:113], v[12:13]
	v_add_f64 v[208:209], v[112:113], v[220:221]
	;; [unrolled: 1-line block ×3, first 2 shown]
	v_fma_f64 v[116:117], v[186:187], s[28:29], -v[116:117]
	v_dual_mov_b32 v223, v156 :: v_dual_mov_b32 v222, v155
	v_dual_mov_b32 v221, v154 :: v_dual_mov_b32 v220, v153
	;; [unrolled: 1-line block ×4, first 2 shown]
	v_mov_b32_e32 v226, v152
	v_mul_f64 v[152:153], v[142:143], s[2:3]
	v_mov_b32_e32 v154, v244
	v_add_f64 v[6:7], v[6:7], v[192:193]
	scratch_store_b64 off, v[0:1], off offset:60 ; 8-byte Folded Spill
	v_add_f64 v[0:1], v[112:113], v[10:11]
	v_add_f64 v[4:5], v[4:5], v[14:15]
	v_fma_f64 v[10:11], v[176:177], s[16:17], v[8:9]
	v_add_f64 v[12:13], v[118:119], v[12:13]
	v_fma_f64 v[8:9], v[176:177], s[16:17], -v[8:9]
	v_add_f64 v[116:117], v[116:117], v[212:213]
	scratch_store_b64 off, v[0:1], off offset:68 ; 8-byte Folded Spill
	v_dual_mov_b32 v0, v241 :: v_dual_mov_b32 v241, v250
	v_mov_b32_e32 v1, v251
	v_add_f64 v[4:5], v[10:11], v[4:5]
	v_mul_f64 v[10:11], v[178:179], s[2:3]
	v_add_f64 v[8:9], v[8:9], v[116:117]
	v_mul_f64 v[116:117], v[174:175], s[26:27]
	s_delay_alu instid0(VALU_DEP_3) | instskip(SKIP_1) | instid1(VALU_DEP_3)
	v_fma_f64 v[14:15], v[180:181], s[16:17], -v[10:11]
	v_fma_f64 v[10:11], v[180:181], s[16:17], v[10:11]
	v_fma_f64 v[118:119], v[176:177], s[22:23], v[116:117]
	v_fma_f64 v[116:117], v[176:177], s[22:23], -v[116:117]
	s_delay_alu instid0(VALU_DEP_4) | instskip(SKIP_2) | instid1(VALU_DEP_2)
	v_add_f64 v[6:7], v[14:15], v[6:7]
	v_mul_f64 v[14:15], v[170:171], s[34:35]
	v_add_f64 v[10:11], v[10:11], v[12:13]
	v_fma_f64 v[112:113], v[16:17], s[22:23], v[14:15]
	v_fma_f64 v[12:13], v[16:17], s[22:23], -v[14:15]
	v_fma_f64 v[14:15], v[140:141], s[20:21], v[234:235]
	s_delay_alu instid0(VALU_DEP_3) | instskip(SKIP_1) | instid1(VALU_DEP_4)
	v_add_f64 v[4:5], v[112:113], v[4:5]
	v_mul_f64 v[112:113], v[172:173], s[34:35]
	v_add_f64 v[8:9], v[12:13], v[8:9]
	s_delay_alu instid0(VALU_DEP_2) | instskip(SKIP_2) | instid1(VALU_DEP_3)
	v_fma_f64 v[114:115], v[18:19], s[22:23], -v[112:113]
	v_fma_f64 v[12:13], v[18:19], s[22:23], v[112:113]
	v_mul_f64 v[112:113], v[182:183], s[30:31]
	v_add_f64 v[6:7], v[114:115], v[6:7]
	v_mul_f64 v[114:115], v[138:139], s[10:11]
	s_delay_alu instid0(VALU_DEP_4) | instskip(NEXT) | instid1(VALU_DEP_2)
	v_add_f64 v[10:11], v[12:13], v[10:11]
	v_fma_f64 v[192:193], v[136:137], s[18:19], v[114:115]
	v_fma_f64 v[12:13], v[136:137], s[18:19], -v[114:115]
	v_mul_f64 v[114:115], v[184:185], s[30:31]
	s_delay_alu instid0(VALU_DEP_3) | instskip(SKIP_1) | instid1(VALU_DEP_4)
	v_add_f64 v[4:5], v[192:193], v[4:5]
	v_mul_f64 v[192:193], v[134:135], s[10:11]
	v_add_f64 v[8:9], v[12:13], v[8:9]
	s_delay_alu instid0(VALU_DEP_2) | instskip(SKIP_1) | instid1(VALU_DEP_2)
	v_fma_f64 v[12:13], v[132:133], s[18:19], v[192:193]
	v_fma_f64 v[230:231], v[132:133], s[18:19], -v[192:193]
	v_add_f64 v[12:13], v[12:13], v[10:11]
	v_fma_f64 v[10:11], v[145:146], s[20:21], -v[232:233]
	s_delay_alu instid0(VALU_DEP_3) | instskip(SKIP_1) | instid1(VALU_DEP_3)
	v_add_f64 v[230:231], v[230:231], v[6:7]
	v_fma_f64 v[6:7], v[145:146], s[20:21], v[232:233]
	v_add_f64 v[10:11], v[10:11], v[8:9]
	v_add_f64 v[8:9], v[14:15], v[12:13]
	v_fma_f64 v[12:13], v[186:187], s[20:21], v[112:113]
	v_fma_f64 v[14:15], v[188:189], s[20:21], -v[114:115]
	v_fma_f64 v[112:113], v[186:187], s[20:21], -v[112:113]
	v_fma_f64 v[114:115], v[188:189], s[20:21], v[114:115]
	v_add_f64 v[63:64], v[6:7], v[4:5]
	v_fma_f64 v[4:5], v[140:141], s[20:21], -v[234:235]
	scratch_load_b64 v[6:7], off, off offset:76 ; 8-byte Folded Reload
	v_add_f64 v[12:13], v[12:13], v[194:195]
	v_add_f64 v[14:15], v[14:15], v[214:215]
	v_add_f64 v[112:113], v[112:113], v[224:225]
	v_add_f64 v[114:115], v[114:115], v[204:205]
	v_mul_f64 v[214:215], v[147:148], s[10:11]
	v_add_f64 v[61:62], v[4:5], v[230:231]
	v_mul_f64 v[230:231], v[142:143], s[10:11]
	v_mul_f64 v[204:205], v[172:173], s[24:25]
	;; [unrolled: 1-line block ×3, first 2 shown]
	v_mov_b32_e32 v5, v242
	v_mov_b32_e32 v4, v158
	v_mul_f64 v[158:159], v[147:148], s[2:3]
	v_mul_f64 v[142:143], v[142:143], s[0:1]
	v_add_f64 v[12:13], v[118:119], v[12:13]
	v_mul_f64 v[118:119], v[178:179], s[26:27]
	v_add_f64 v[112:113], v[116:117], v[112:113]
	s_delay_alu instid0(VALU_DEP_2) | instskip(SKIP_2) | instid1(VALU_DEP_3)
	v_fma_f64 v[192:193], v[180:181], s[22:23], -v[118:119]
	v_fma_f64 v[116:117], v[180:181], s[22:23], v[118:119]
	v_fma_f64 v[118:119], v[140:141], s[18:19], v[230:231]
	v_add_f64 v[14:15], v[192:193], v[14:15]
	v_mul_f64 v[192:193], v[170:171], s[36:37]
	s_delay_alu instid0(VALU_DEP_4) | instskip(NEXT) | instid1(VALU_DEP_2)
	v_add_f64 v[114:115], v[116:117], v[114:115]
	v_fma_f64 v[194:195], v[16:17], s[14:15], v[192:193]
	v_fma_f64 v[116:117], v[16:17], s[14:15], -v[192:193]
	v_mul_f64 v[192:193], v[182:183], s[38:39]
	s_delay_alu instid0(VALU_DEP_3) | instskip(SKIP_1) | instid1(VALU_DEP_4)
	v_add_f64 v[12:13], v[194:195], v[12:13]
	v_mul_f64 v[194:195], v[172:173], s[36:37]
	v_add_f64 v[112:113], v[116:117], v[112:113]
	s_delay_alu instid0(VALU_DEP_2) | instskip(SKIP_2) | instid1(VALU_DEP_3)
	v_fma_f64 v[116:117], v[18:19], s[14:15], v[194:195]
	v_fma_f64 v[212:213], v[18:19], s[14:15], -v[194:195]
	v_mul_f64 v[194:195], v[184:185], s[38:39]
	v_add_f64 v[114:115], v[116:117], v[114:115]
	v_fma_f64 v[116:117], v[136:137], s[28:29], -v[120:121]
	s_delay_alu instid0(VALU_DEP_4)
	v_add_f64 v[14:15], v[212:213], v[14:15]
	v_fma_f64 v[212:213], v[136:137], s[28:29], v[120:121]
	v_fma_f64 v[120:121], v[176:177], s[28:29], v[128:129]
	v_fma_f64 v[128:129], v[176:177], s[28:29], -v[128:129]
	v_add_f64 v[112:113], v[116:117], v[112:113]
	v_fma_f64 v[116:117], v[132:133], s[28:29], v[122:123]
	v_add_f64 v[12:13], v[212:213], v[12:13]
	v_fma_f64 v[212:213], v[132:133], s[28:29], -v[122:123]
	s_delay_alu instid0(VALU_DEP_3) | instskip(SKIP_1) | instid1(VALU_DEP_3)
	v_add_f64 v[116:117], v[116:117], v[114:115]
	v_fma_f64 v[114:115], v[145:146], s[18:19], -v[214:215]
	v_add_f64 v[212:213], v[212:213], v[14:15]
	v_fma_f64 v[14:15], v[145:146], s[18:19], v[214:215]
	v_mul_f64 v[214:215], v[134:135], s[36:37]
	s_delay_alu instid0(VALU_DEP_4)
	v_add_f64 v[114:115], v[114:115], v[112:113]
	v_add_f64 v[112:113], v[118:119], v[116:117]
	v_fma_f64 v[116:117], v[186:187], s[16:17], v[192:193]
	v_fma_f64 v[118:119], v[188:189], s[16:17], -v[194:195]
	v_add_f64 v[14:15], v[14:15], v[12:13]
	v_fma_f64 v[12:13], v[140:141], s[18:19], -v[230:231]
	v_mul_f64 v[230:231], v[182:183], s[10:11]
	v_add_f64 v[116:117], v[116:117], v[196:197]
	v_add_f64 v[118:119], v[118:119], v[216:217]
	v_mul_f64 v[196:197], v[170:171], s[24:25]
	v_add_f64 v[12:13], v[12:13], v[212:213]
	v_mul_f64 v[212:213], v[138:139], s[36:37]
	v_mul_f64 v[216:217], v[147:148], s[34:35]
	;; [unrolled: 1-line block ×3, first 2 shown]
	v_add_f64 v[116:117], v[120:121], v[116:117]
	v_fma_f64 v[120:121], v[180:181], s[28:29], -v[130:131]
	v_fma_f64 v[130:131], v[180:181], s[28:29], v[130:131]
	s_delay_alu instid0(VALU_DEP_2) | instskip(SKIP_1) | instid1(VALU_DEP_1)
	v_add_f64 v[118:119], v[120:121], v[118:119]
	v_fma_f64 v[120:121], v[16:17], s[20:21], v[196:197]
	v_add_f64 v[116:117], v[120:121], v[116:117]
	v_fma_f64 v[120:121], v[18:19], s[20:21], -v[204:205]
	s_delay_alu instid0(VALU_DEP_1) | instskip(SKIP_1) | instid1(VALU_DEP_1)
	v_add_f64 v[118:119], v[120:121], v[118:119]
	v_fma_f64 v[120:121], v[136:137], s[14:15], v[212:213]
	v_add_f64 v[116:117], v[120:121], v[116:117]
	v_fma_f64 v[120:121], v[132:133], s[14:15], -v[214:215]
	s_delay_alu instid0(VALU_DEP_1) | instskip(SKIP_1) | instid1(VALU_DEP_1)
	;; [unrolled: 5-line block ×3, first 2 shown]
	v_add_f64 v[116:117], v[116:117], v[120:121]
	v_fma_f64 v[120:121], v[186:187], s[18:19], -v[230:231]
	v_add_f64 v[120:121], v[120:121], v[190:191]
	v_mul_f64 v[190:191], v[184:185], s[10:11]
	s_delay_alu instid0(VALU_DEP_1) | instskip(NEXT) | instid1(VALU_DEP_1)
	v_fma_f64 v[122:123], v[188:189], s[18:19], v[190:191]
	v_add_f64 v[122:123], v[122:123], v[210:211]
	v_mul_f64 v[210:211], v[174:175], s[0:1]
	s_delay_alu instid0(VALU_DEP_1) | instskip(NEXT) | instid1(VALU_DEP_1)
	v_fma_f64 v[232:233], v[176:177], s[14:15], -v[210:211]
	v_add_f64 v[120:121], v[232:233], v[120:121]
	v_mul_f64 v[232:233], v[178:179], s[0:1]
	s_delay_alu instid0(VALU_DEP_1) | instskip(NEXT) | instid1(VALU_DEP_1)
	v_fma_f64 v[234:235], v[180:181], s[14:15], v[232:233]
	v_add_f64 v[122:123], v[234:235], v[122:123]
	v_mul_f64 v[234:235], v[170:171], s[38:39]
	s_delay_alu instid0(VALU_DEP_1) | instskip(NEXT) | instid1(VALU_DEP_1)
	;; [unrolled: 8-line block ×3, first 2 shown]
	v_fma_f64 v[242:243], v[136:137], s[20:21], -v[238:239]
	v_add_f64 v[120:121], v[242:243], v[120:121]
	v_mul_f64 v[242:243], v[134:135], s[30:31]
	s_mov_b32 s31, 0x3fedeba7
	s_mov_b32 s30, s10
	s_delay_alu instid0(VALU_DEP_1) | instskip(NEXT) | instid1(VALU_DEP_1)
	v_fma_f64 v[244:245], v[132:133], s[20:21], v[242:243]
	v_add_f64 v[244:245], v[244:245], v[122:123]
	v_fma_f64 v[122:123], v[145:146], s[28:29], -v[166:167]
	s_delay_alu instid0(VALU_DEP_1) | instskip(SKIP_1) | instid1(VALU_DEP_1)
	v_add_f64 v[122:123], v[122:123], v[120:121]
	v_fma_f64 v[120:121], v[140:141], s[28:29], v[168:169]
	v_add_f64 v[120:121], v[120:121], v[244:245]
	v_mul_f64 v[244:245], v[182:183], s[0:1]
	s_delay_alu instid0(VALU_DEP_1) | instskip(NEXT) | instid1(VALU_DEP_1)
	v_fma_f64 v[246:247], v[186:187], s[14:15], -v[244:245]
	v_add_f64 v[124:125], v[246:247], v[124:125]
	v_mul_f64 v[246:247], v[184:185], s[0:1]
	s_delay_alu instid0(VALU_DEP_1) | instskip(NEXT) | instid1(VALU_DEP_1)
	v_fma_f64 v[248:249], v[188:189], s[14:15], v[246:247]
	v_add_f64 v[126:127], v[248:249], v[126:127]
	v_mul_f64 v[248:249], v[174:175], s[30:31]
	v_mul_f64 v[174:175], v[174:175], s[24:25]
	s_delay_alu instid0(VALU_DEP_2) | instskip(NEXT) | instid1(VALU_DEP_1)
	v_fma_f64 v[250:251], v[176:177], s[18:19], -v[248:249]
	v_add_f64 v[124:125], v[250:251], v[124:125]
	v_mul_f64 v[250:251], v[178:179], s[30:31]
	v_mul_f64 v[178:179], v[178:179], s[24:25]
	s_delay_alu instid0(VALU_DEP_2) | instskip(NEXT) | instid1(VALU_DEP_1)
	v_fma_f64 v[252:253], v[180:181], s[18:19], v[250:251]
	v_add_f64 v[126:127], v[252:253], v[126:127]
	v_fma_f64 v[252:253], v[16:17], s[28:29], -v[162:163]
	v_fma_f64 v[162:163], v[16:17], s[28:29], v[162:163]
	s_delay_alu instid0(VALU_DEP_2) | instskip(SKIP_1) | instid1(VALU_DEP_1)
	v_add_f64 v[124:125], v[252:253], v[124:125]
	v_fma_f64 v[252:253], v[18:19], s[28:29], v[164:165]
	v_add_f64 v[126:127], v[252:253], v[126:127]
	v_mul_f64 v[252:253], v[138:139], s[26:27]
	v_mul_f64 v[138:139], v[138:139], s[2:3]
	s_delay_alu instid0(VALU_DEP_2) | instskip(NEXT) | instid1(VALU_DEP_1)
	v_fma_f64 v[150:151], v[136:137], s[22:23], -v[252:253]
	v_add_f64 v[124:125], v[150:151], v[124:125]
	v_mul_f64 v[150:151], v[134:135], s[26:27]
	v_mul_f64 v[134:135], v[134:135], s[2:3]
	s_delay_alu instid0(VALU_DEP_2) | instskip(SKIP_1) | instid1(VALU_DEP_2)
	v_fma_f64 v[156:157], v[132:133], s[22:23], v[150:151]
	v_fma_f64 v[150:151], v[132:133], s[22:23], -v[150:151]
	v_add_f64 v[156:157], v[156:157], v[126:127]
	v_fma_f64 v[126:127], v[145:146], s[16:17], -v[158:159]
	v_fma_f64 v[158:159], v[145:146], s[16:17], v[158:159]
	s_delay_alu instid0(VALU_DEP_2) | instskip(SKIP_2) | instid1(VALU_DEP_2)
	v_add_f64 v[126:127], v[126:127], v[124:125]
	v_fma_f64 v[124:125], v[140:141], s[16:17], v[152:153]
	v_fma_f64 v[152:153], v[140:141], s[16:17], -v[152:153]
	v_add_f64 v[124:125], v[124:125], v[156:157]
	v_fma_f64 v[156:157], v[186:187], s[16:17], -v[192:193]
	v_fma_f64 v[192:193], v[188:189], s[16:17], v[194:195]
	v_fma_f64 v[194:195], v[176:177], s[18:19], v[248:249]
	v_mov_b32_e32 v249, v161
	v_dual_mov_b32 v161, v85 :: v_dual_mov_b32 v248, v160
	v_mov_b32_e32 v160, v254
	v_mov_b32_e32 v254, v84
	s_waitcnt vmcnt(0)
	v_add_f64 v[156:157], v[156:157], v[6:7]
	v_add_f64 v[192:193], v[192:193], v[206:207]
	s_delay_alu instid0(VALU_DEP_2) | instskip(SKIP_1) | instid1(VALU_DEP_3)
	v_add_f64 v[128:129], v[128:129], v[156:157]
	v_fma_f64 v[156:157], v[16:17], s[20:21], -v[196:197]
	v_add_f64 v[130:131], v[130:131], v[192:193]
	v_fma_f64 v[192:193], v[140:141], s[22:23], v[224:225]
	s_delay_alu instid0(VALU_DEP_3) | instskip(SKIP_1) | instid1(VALU_DEP_1)
	v_add_f64 v[128:129], v[156:157], v[128:129]
	v_fma_f64 v[156:157], v[18:19], s[20:21], v[204:205]
	v_add_f64 v[130:131], v[156:157], v[130:131]
	v_fma_f64 v[156:157], v[136:137], s[14:15], -v[212:213]
	s_delay_alu instid0(VALU_DEP_1) | instskip(SKIP_1) | instid1(VALU_DEP_1)
	v_add_f64 v[128:129], v[156:157], v[128:129]
	v_fma_f64 v[156:157], v[132:133], s[14:15], v[214:215]
	v_add_f64 v[156:157], v[156:157], v[130:131]
	v_fma_f64 v[130:131], v[145:146], s[22:23], -v[216:217]
	v_dual_mov_b32 v217, v28 :: v_dual_mov_b32 v216, v27
	v_dual_mov_b32 v214, v25 :: v_dual_mov_b32 v215, v26
	s_delay_alu instid0(VALU_DEP_3)
	v_add_f64 v[130:131], v[130:131], v[128:129]
	v_add_f64 v[128:129], v[192:193], v[156:157]
	v_fma_f64 v[156:157], v[186:187], s[14:15], v[244:245]
	v_mov_b32_e32 v245, v255
	v_fma_f64 v[192:193], v[188:189], s[14:15], -v[246:247]
	v_mov_b32_e32 v246, v144
	v_dual_mov_b32 v255, v20 :: v_dual_mov_b32 v244, v154
	v_dual_mov_b32 v247, v240 :: v_dual_mov_b32 v144, v155
	v_add_f64 v[156:157], v[156:157], v[198:199]
	v_add_f64 v[192:193], v[192:193], v[218:219]
	s_delay_alu instid0(VALU_DEP_2)
	v_add_f64 v[156:157], v[194:195], v[156:157]
	v_fma_f64 v[194:195], v[180:181], s[18:19], -v[250:251]
	v_mov_b32_e32 v251, v1
	v_dual_mov_b32 v250, v241 :: v_dual_mov_b32 v241, v0
	scratch_load_b64 v[0:1], off, off offset:68 ; 8-byte Folded Reload
	v_add_f64 v[156:157], v[162:163], v[156:157]
	v_add_f64 v[192:193], v[194:195], v[192:193]
	v_fma_f64 v[162:163], v[18:19], s[28:29], -v[164:165]
	v_fma_f64 v[164:165], v[136:137], s[22:23], v[252:253]
	v_dual_mov_b32 v252, v2 :: v_dual_mov_b32 v253, v3
	s_delay_alu instid0(VALU_DEP_3) | instskip(NEXT) | instid1(VALU_DEP_3)
	v_add_f64 v[162:163], v[162:163], v[192:193]
	v_add_f64 v[156:157], v[164:165], v[156:157]
	s_delay_alu instid0(VALU_DEP_2) | instskip(NEXT) | instid1(VALU_DEP_2)
	v_add_f64 v[150:151], v[150:151], v[162:163]
	v_add_f64 v[164:165], v[158:159], v[156:157]
	v_fma_f64 v[156:157], v[176:177], s[14:15], v[210:211]
	v_fma_f64 v[158:159], v[140:141], s[28:29], -v[168:169]
	s_delay_alu instid0(VALU_DEP_4)
	v_add_f64 v[162:163], v[152:153], v[150:151]
	v_fma_f64 v[150:151], v[186:187], s[18:19], v[230:231]
	v_mov_b32_e32 v231, v87
	v_fma_f64 v[152:153], v[188:189], s[18:19], -v[190:191]
	v_mov_b32_e32 v230, v86
	v_dual_mov_b32 v84, v100 :: v_dual_mov_b32 v87, v103
	v_dual_mov_b32 v85, v101 :: v_dual_mov_b32 v86, v102
	;; [unrolled: 1-line block ×6, first 2 shown]
	v_add_f64 v[150:151], v[150:151], v[200:201]
	v_add_f64 v[152:153], v[152:153], v[208:209]
	s_delay_alu instid0(VALU_DEP_2) | instskip(SKIP_1) | instid1(VALU_DEP_1)
	v_add_f64 v[150:151], v[156:157], v[150:151]
	v_fma_f64 v[156:157], v[180:181], s[14:15], -v[232:233]
	v_add_f64 v[152:153], v[156:157], v[152:153]
	v_fma_f64 v[156:157], v[16:17], s[16:17], v[234:235]
	s_delay_alu instid0(VALU_DEP_1) | instskip(SKIP_1) | instid1(VALU_DEP_1)
	v_add_f64 v[150:151], v[156:157], v[150:151]
	v_fma_f64 v[156:157], v[18:19], s[16:17], -v[236:237]
	v_add_f64 v[152:153], v[156:157], v[152:153]
	v_fma_f64 v[156:157], v[136:137], s[20:21], v[238:239]
	s_delay_alu instid0(VALU_DEP_1) | instskip(SKIP_1) | instid1(VALU_DEP_1)
	v_add_f64 v[150:151], v[156:157], v[150:151]
	v_fma_f64 v[156:157], v[132:133], s[20:21], -v[242:243]
	v_add_f64 v[152:153], v[156:157], v[152:153]
	v_fma_f64 v[156:157], v[145:146], s[28:29], v[166:167]
	s_delay_alu instid0(VALU_DEP_2) | instskip(NEXT) | instid1(VALU_DEP_2)
	v_add_f64 v[166:167], v[158:159], v[152:153]
	v_add_f64 v[168:169], v[156:157], v[150:151]
	v_mul_f64 v[150:151], v[182:183], s[26:27]
	v_mul_f64 v[156:157], v[184:185], s[26:27]
	v_fma_f64 v[182:183], v[176:177], s[20:21], -v[174:175]
	v_mul_f64 v[184:185], v[172:173], s[10:11]
	s_delay_alu instid0(VALU_DEP_4) | instskip(NEXT) | instid1(VALU_DEP_4)
	v_fma_f64 v[152:153], v[186:187], s[22:23], -v[150:151]
	v_fma_f64 v[158:159], v[188:189], s[22:23], v[156:157]
	v_fma_f64 v[150:151], v[186:187], s[22:23], v[150:151]
	s_delay_alu instid0(VALU_DEP_3) | instskip(SKIP_1) | instid1(VALU_DEP_3)
	v_add_f64 v[152:153], v[152:153], v[202:203]
	s_waitcnt vmcnt(0)
	v_add_f64 v[158:159], v[158:159], v[0:1]
	scratch_load_b64 v[0:1], off, off offset:60 ; 8-byte Folded Reload
	v_add_f64 v[150:151], v[150:151], v[227:228]
	v_add_f64 v[152:153], v[182:183], v[152:153]
	v_fma_f64 v[182:183], v[180:181], s[20:21], v[178:179]
	s_delay_alu instid0(VALU_DEP_1) | instskip(SKIP_1) | instid1(VALU_DEP_1)
	v_add_f64 v[158:159], v[182:183], v[158:159]
	v_mul_f64 v[182:183], v[170:171], s[10:11]
	v_fma_f64 v[170:171], v[16:17], s[18:19], -v[182:183]
	v_fma_f64 v[16:17], v[16:17], s[18:19], v[182:183]
	s_delay_alu instid0(VALU_DEP_2) | instskip(SKIP_2) | instid1(VALU_DEP_2)
	v_add_f64 v[152:153], v[170:171], v[152:153]
	v_fma_f64 v[170:171], v[18:19], s[18:19], v[184:185]
	v_fma_f64 v[18:19], v[18:19], s[18:19], -v[184:185]
	v_add_f64 v[158:159], v[170:171], v[158:159]
	v_fma_f64 v[170:171], v[136:137], s[16:17], -v[138:139]
	v_fma_f64 v[136:137], v[136:137], s[16:17], v[138:139]
	s_delay_alu instid0(VALU_DEP_2) | instskip(SKIP_3) | instid1(VALU_DEP_3)
	v_add_f64 v[152:153], v[170:171], v[152:153]
	v_fma_f64 v[170:171], v[132:133], s[16:17], v[134:135]
	v_fma_f64 v[132:133], v[132:133], s[16:17], -v[134:135]
	v_fma_f64 v[134:135], v[145:146], s[14:15], v[147:148]
	v_add_f64 v[158:159], v[170:171], v[158:159]
	v_fma_f64 v[170:171], v[145:146], s[14:15], -v[147:148]
	s_delay_alu instid0(VALU_DEP_1) | instskip(SKIP_1) | instid1(VALU_DEP_1)
	v_add_f64 v[172:173], v[170:171], v[152:153]
	v_fma_f64 v[152:153], v[140:141], s[14:15], v[142:143]
	v_add_f64 v[170:171], v[152:153], v[158:159]
	v_fma_f64 v[152:153], v[188:189], s[22:23], -v[156:157]
	v_fma_f64 v[156:157], v[176:177], s[20:21], v[174:175]
	v_fma_f64 v[158:159], v[180:181], s[20:21], -v[178:179]
	s_waitcnt vmcnt(0)
	s_delay_alu instid0(VALU_DEP_3) | instskip(NEXT) | instid1(VALU_DEP_3)
	v_add_f64 v[152:153], v[152:153], v[0:1]
	v_add_f64 v[150:151], v[156:157], v[150:151]
	v_mov_b32_e32 v157, v229
	s_delay_alu instid0(VALU_DEP_3) | instskip(SKIP_1) | instid1(VALU_DEP_4)
	v_add_f64 v[152:153], v[158:159], v[152:153]
	v_mov_b32_e32 v158, v4
	v_add_f64 v[16:17], v[16:17], v[150:151]
	v_mov_b32_e32 v159, v66
	s_delay_alu instid0(VALU_DEP_4) | instskip(SKIP_1) | instid1(VALU_DEP_4)
	v_add_f64 v[18:19], v[18:19], v[152:153]
	v_dual_mov_b32 v153, v220 :: v_dual_mov_b32 v154, v221
	v_add_f64 v[16:17], v[136:137], v[16:17]
	v_fma_f64 v[136:137], v[140:141], s[14:15], -v[142:143]
	v_dual_mov_b32 v155, v222 :: v_dual_mov_b32 v156, v223
	v_dual_mov_b32 v225, v36 :: v_dual_mov_b32 v224, v35
	v_dual_mov_b32 v223, v34 :: v_dual_mov_b32 v222, v33
	v_mov_b32_e32 v36, v37
	v_mov_b32_e32 v37, v38
	;; [unrolled: 1-line block ×3, first 2 shown]
	v_dual_mov_b32 v39, v40 :: v_dual_mov_b32 v40, v41
	v_mov_b32_e32 v41, v42
	v_mov_b32_e32 v42, v43
	v_dual_mov_b32 v43, v44 :: v_dual_mov_b32 v44, v45
	v_mov_b32_e32 v45, v46
	v_mov_b32_e32 v46, v47
	v_dual_mov_b32 v47, v48 :: v_dual_mov_b32 v48, v49
	v_mov_b32_e32 v152, v226
	v_dual_mov_b32 v229, v70 :: v_dual_mov_b32 v228, v69
	v_mov_b32_e32 v49, v50
	v_mov_b32_e32 v50, v51
	v_dual_mov_b32 v51, v52 :: v_dual_mov_b32 v52, v53
	v_dual_mov_b32 v227, v68 :: v_dual_mov_b32 v226, v67
	v_dual_mov_b32 v66, v71 :: v_dual_mov_b32 v69, v74
	v_mov_b32_e32 v53, v54
	v_mov_b32_e32 v54, v55
	;; [unrolled: 1-line block ×3, first 2 shown]
	v_add_f64 v[132:133], v[132:133], v[18:19]
	v_dual_mov_b32 v56, v57 :: v_dual_mov_b32 v67, v72
	v_add_f64 v[18:19], v[134:135], v[16:17]
	v_mov_b32_e32 v68, v73
	v_dual_mov_b32 v70, v75 :: v_dual_mov_b32 v57, v58
	v_mov_b32_e32 v58, v59
	v_mov_b32_e32 v59, v60
	s_clause 0x2
	scratch_load_b128 v[232:235], off, off offset:28
	scratch_load_b32 v60, off, off offset:4
	scratch_load_b128 v[218:221], off, off offset:12
	v_dual_mov_b32 v74, v65 :: v_dual_mov_b32 v73, v78
	v_dual_mov_b32 v71, v76 :: v_dual_mov_b32 v72, v77
	v_mov_b32_e32 v65, v79
	scratch_load_b32 v75, off, off offset:8 ; 4-byte Folded Reload
	v_dual_mov_b32 v76, v96 :: v_dual_mov_b32 v79, v99
	v_dual_mov_b32 v77, v97 :: v_dual_mov_b32 v78, v98
	;; [unrolled: 1-line block ×6, first 2 shown]
	v_add_f64 v[16:17], v[136:137], v[132:133]
	v_and_b32_e32 v132, 0xffff, v5
	s_delay_alu instid0(VALU_DEP_1)
	v_lshlrev_b32_e32 v132, 4, v132
	ds_store_b128 v132, v[120:123] offset:32
	ds_store_b128 v132, v[124:127] offset:48
	;; [unrolled: 1-line block ×11, first 2 shown]
	scratch_load_b128 v[0:3], off, off offset:44 ; 16-byte Folded Reload
	s_waitcnt vmcnt(0)
	ds_store_b128 v132, v[0:3]
	ds_store_b128 v132, v[16:19] offset:192
.LBB0_13:
	s_or_b32 exec_lo, exec_lo, s33
	s_waitcnt lgkmcnt(0)
	s_waitcnt_vscnt null, 0x0
	s_barrier
	buffer_gl0_inv
	ds_load_b128 v[0:3], v149 offset:13312
	ds_load_b128 v[4:7], v149 offset:16640
	;; [unrolled: 1-line block ×4, first 2 shown]
	s_waitcnt lgkmcnt(3)
	v_mul_f64 v[16:17], v[220:221], v[2:3]
	v_mul_f64 v[18:19], v[220:221], v[0:1]
	s_waitcnt lgkmcnt(2)
	v_mul_f64 v[30:31], v[224:225], v[6:7]
	v_mul_f64 v[34:35], v[224:225], v[4:5]
	;; [unrolled: 3-line block ×4, first 2 shown]
	v_fma_f64 v[16:17], v[218:219], v[0:1], v[16:17]
	v_fma_f64 v[18:19], v[218:219], v[2:3], -v[18:19]
	v_fma_f64 v[28:29], v[222:223], v[4:5], v[30:31]
	v_fma_f64 v[30:31], v[222:223], v[6:7], -v[34:35]
	;; [unrolled: 2-line block ×4, first 2 shown]
	ds_load_b128 v[0:3], v149
	ds_load_b128 v[4:7], v149 offset:3328
	ds_load_b128 v[8:11], v149 offset:6656
	;; [unrolled: 1-line block ×3, first 2 shown]
	s_waitcnt lgkmcnt(0)
	s_barrier
	buffer_gl0_inv
	v_add_f64 v[16:17], v[0:1], -v[16:17]
	v_add_f64 v[18:19], v[2:3], -v[18:19]
	v_add_f64 v[20:21], v[4:5], -v[28:29]
	v_add_f64 v[22:23], v[6:7], -v[30:31]
	v_add_f64 v[24:25], v[8:9], -v[32:33]
	v_add_f64 v[26:27], v[10:11], -v[26:27]
	v_add_f64 v[28:29], v[12:13], -v[34:35]
	v_add_f64 v[30:31], v[14:15], -v[112:113]
	v_fma_f64 v[0:1], v[0:1], 2.0, -v[16:17]
	v_fma_f64 v[2:3], v[2:3], 2.0, -v[18:19]
	;; [unrolled: 1-line block ×8, first 2 shown]
	ds_store_b128 v157, v[0:3]
	ds_store_b128 v157, v[16:19] offset:208
	ds_store_b128 v159, v[4:7]
	ds_store_b128 v159, v[20:23] offset:208
	;; [unrolled: 2-line block ×4, first 2 shown]
	s_waitcnt lgkmcnt(0)
	s_barrier
	buffer_gl0_inv
	ds_load_b128 v[0:3], v149 offset:13312
	ds_load_b128 v[4:7], v149 offset:16640
	;; [unrolled: 1-line block ×4, first 2 shown]
	s_waitcnt lgkmcnt(3)
	v_mul_f64 v[16:17], v[46:47], v[2:3]
	v_mul_f64 v[18:19], v[46:47], v[0:1]
	s_waitcnt lgkmcnt(2)
	v_mul_f64 v[20:21], v[50:51], v[6:7]
	v_mul_f64 v[22:23], v[50:51], v[4:5]
	;; [unrolled: 3-line block ×4, first 2 shown]
	v_fma_f64 v[16:17], v[44:45], v[0:1], v[16:17]
	v_fma_f64 v[18:19], v[44:45], v[2:3], -v[18:19]
	v_fma_f64 v[20:21], v[48:49], v[4:5], v[20:21]
	v_fma_f64 v[22:23], v[48:49], v[6:7], -v[22:23]
	;; [unrolled: 2-line block ×4, first 2 shown]
	ds_load_b128 v[0:3], v149
	ds_load_b128 v[4:7], v149 offset:3328
	ds_load_b128 v[8:11], v149 offset:6656
	;; [unrolled: 1-line block ×3, first 2 shown]
	s_waitcnt lgkmcnt(0)
	s_barrier
	buffer_gl0_inv
	v_add_f64 v[16:17], v[0:1], -v[16:17]
	v_add_f64 v[18:19], v[2:3], -v[18:19]
	;; [unrolled: 1-line block ×8, first 2 shown]
	v_fma_f64 v[0:1], v[0:1], 2.0, -v[16:17]
	v_fma_f64 v[2:3], v[2:3], 2.0, -v[18:19]
	;; [unrolled: 1-line block ×8, first 2 shown]
	ds_store_b128 v230, v[0:3]
	ds_store_b128 v230, v[16:19] offset:416
	ds_store_b128 v161, v[4:7]
	ds_store_b128 v161, v[20:23] offset:416
	;; [unrolled: 2-line block ×4, first 2 shown]
	s_waitcnt lgkmcnt(0)
	s_barrier
	buffer_gl0_inv
	ds_load_b128 v[0:3], v149 offset:6656
	ds_load_b128 v[4:7], v149 offset:13312
	;; [unrolled: 1-line block ×6, first 2 shown]
	s_waitcnt lgkmcnt(5)
	v_mul_f64 v[24:25], v[58:59], v[2:3]
	v_mul_f64 v[26:27], v[58:59], v[0:1]
	s_waitcnt lgkmcnt(4)
	v_mul_f64 v[28:29], v[234:235], v[6:7]
	v_mul_f64 v[30:31], v[234:235], v[4:5]
	;; [unrolled: 3-line block ×6, first 2 shown]
	v_fma_f64 v[24:25], v[56:57], v[0:1], v[24:25]
	v_fma_f64 v[26:27], v[56:57], v[2:3], -v[26:27]
	v_fma_f64 v[28:29], v[232:233], v[4:5], v[28:29]
	v_fma_f64 v[30:31], v[232:233], v[6:7], -v[30:31]
	;; [unrolled: 2-line block ×6, first 2 shown]
	ds_load_b128 v[0:3], v149
	ds_load_b128 v[4:7], v149 offset:3328
	s_waitcnt lgkmcnt(0)
	s_barrier
	buffer_gl0_inv
	v_add_f64 v[28:29], v[0:1], -v[28:29]
	v_add_f64 v[30:31], v[2:3], -v[30:31]
	;; [unrolled: 1-line block ×8, first 2 shown]
	v_fma_f64 v[22:23], v[0:1], 2.0, -v[28:29]
	v_fma_f64 v[36:37], v[2:3], 2.0, -v[30:31]
	;; [unrolled: 1-line block ×4, first 2 shown]
	v_add_f64 v[0:1], v[28:29], v[10:11]
	v_add_f64 v[2:3], v[30:31], -v[8:9]
	v_fma_f64 v[38:39], v[4:5], 2.0, -v[32:33]
	v_fma_f64 v[40:41], v[6:7], 2.0, -v[34:35]
	v_fma_f64 v[6:7], v[12:13], 2.0, -v[16:17]
	v_fma_f64 v[14:15], v[14:15], 2.0, -v[18:19]
	v_add_f64 v[4:5], v[32:33], v[18:19]
	v_add_f64 v[8:9], v[22:23], -v[20:21]
	v_add_f64 v[10:11], v[36:37], -v[24:25]
	v_fma_f64 v[18:19], v[30:31], 2.0, -v[2:3]
	v_add_f64 v[12:13], v[38:39], -v[6:7]
	v_add_f64 v[14:15], v[40:41], -v[14:15]
	v_add_f64 v[6:7], v[34:35], -v[16:17]
	v_fma_f64 v[16:17], v[28:29], 2.0, -v[0:1]
	v_fma_f64 v[20:21], v[32:33], 2.0, -v[4:5]
	;; [unrolled: 1-line block ×7, first 2 shown]
	ds_store_b128 v231, v[8:11] offset:1664
	ds_store_b128 v231, v[0:3] offset:2496
	ds_store_b128 v231, v[24:27]
	ds_store_b128 v231, v[16:19] offset:832
	ds_store_b128 v74, v[28:31]
	ds_store_b128 v74, v[20:23] offset:832
	ds_store_b128 v74, v[12:15] offset:1664
	;; [unrolled: 1-line block ×3, first 2 shown]
	s_waitcnt lgkmcnt(0)
	s_barrier
	buffer_gl0_inv
	ds_load_b128 v[0:3], v149 offset:13312
	ds_load_b128 v[4:7], v149 offset:16640
	;; [unrolled: 1-line block ×4, first 2 shown]
	s_waitcnt lgkmcnt(3)
	v_mul_f64 v[16:17], v[82:83], v[2:3]
	v_mul_f64 v[18:19], v[82:83], v[0:1]
	s_waitcnt lgkmcnt(2)
	v_mul_f64 v[20:21], v[82:83], v[6:7]
	v_mul_f64 v[22:23], v[82:83], v[4:5]
	;; [unrolled: 3-line block ×4, first 2 shown]
	v_fma_f64 v[16:17], v[80:81], v[0:1], v[16:17]
	v_fma_f64 v[18:19], v[80:81], v[2:3], -v[18:19]
	v_fma_f64 v[20:21], v[80:81], v[4:5], v[20:21]
	v_fma_f64 v[22:23], v[80:81], v[6:7], -v[22:23]
	;; [unrolled: 2-line block ×4, first 2 shown]
	ds_load_b128 v[0:3], v149
	ds_load_b128 v[4:7], v149 offset:3328
	ds_load_b128 v[8:11], v149 offset:6656
	;; [unrolled: 1-line block ×3, first 2 shown]
	s_waitcnt lgkmcnt(0)
	s_barrier
	buffer_gl0_inv
	v_add_f64 v[16:17], v[0:1], -v[16:17]
	v_add_f64 v[18:19], v[2:3], -v[18:19]
	;; [unrolled: 1-line block ×8, first 2 shown]
	v_fma_f64 v[0:1], v[0:1], 2.0, -v[16:17]
	v_fma_f64 v[2:3], v[2:3], 2.0, -v[18:19]
	;; [unrolled: 1-line block ×8, first 2 shown]
	ds_store_b128 v149, v[0:3]
	ds_store_b128 v149, v[16:19] offset:3328
	ds_store_b128 v149, v[4:7] offset:6656
	;; [unrolled: 1-line block ×7, first 2 shown]
	s_waitcnt lgkmcnt(0)
	s_barrier
	buffer_gl0_inv
	ds_load_b128 v[0:3], v149 offset:13312
	ds_load_b128 v[4:7], v149 offset:16640
	;; [unrolled: 1-line block ×4, first 2 shown]
	s_waitcnt lgkmcnt(3)
	v_mul_f64 v[16:17], v[90:91], v[2:3]
	v_mul_f64 v[18:19], v[90:91], v[0:1]
	s_waitcnt lgkmcnt(2)
	v_mul_f64 v[20:21], v[94:95], v[6:7]
	v_mul_f64 v[22:23], v[94:95], v[4:5]
	s_waitcnt lgkmcnt(1)
	v_mul_f64 v[24:25], v[90:91], v[10:11]
	v_mul_f64 v[26:27], v[90:91], v[8:9]
	s_waitcnt lgkmcnt(0)
	v_mul_f64 v[28:29], v[94:95], v[14:15]
	v_mul_f64 v[30:31], v[94:95], v[12:13]
	v_fma_f64 v[16:17], v[88:89], v[0:1], v[16:17]
	v_fma_f64 v[18:19], v[88:89], v[2:3], -v[18:19]
	v_fma_f64 v[20:21], v[92:93], v[4:5], v[20:21]
	v_fma_f64 v[22:23], v[92:93], v[6:7], -v[22:23]
	v_fma_f64 v[24:25], v[88:89], v[8:9], v[24:25]
	v_fma_f64 v[26:27], v[88:89], v[10:11], -v[26:27]
	v_fma_f64 v[28:29], v[92:93], v[12:13], v[28:29]
	v_fma_f64 v[30:31], v[92:93], v[14:15], -v[30:31]
	ds_load_b128 v[0:3], v149
	ds_load_b128 v[4:7], v149 offset:3328
	ds_load_b128 v[8:11], v149 offset:6656
	;; [unrolled: 1-line block ×3, first 2 shown]
	s_waitcnt lgkmcnt(0)
	s_barrier
	buffer_gl0_inv
	v_add_f64 v[16:17], v[0:1], -v[16:17]
	v_add_f64 v[18:19], v[2:3], -v[18:19]
	;; [unrolled: 1-line block ×8, first 2 shown]
	v_fma_f64 v[0:1], v[0:1], 2.0, -v[16:17]
	v_fma_f64 v[2:3], v[2:3], 2.0, -v[18:19]
	v_fma_f64 v[4:5], v[4:5], 2.0, -v[20:21]
	v_fma_f64 v[6:7], v[6:7], 2.0, -v[22:23]
	v_fma_f64 v[8:9], v[8:9], 2.0, -v[24:25]
	v_fma_f64 v[10:11], v[10:11], 2.0, -v[26:27]
	v_fma_f64 v[12:13], v[12:13], 2.0, -v[28:29]
	v_fma_f64 v[14:15], v[14:15], 2.0, -v[30:31]
	ds_store_b128 v149, v[16:19] offset:6656
	ds_store_b128 v149, v[20:23] offset:9984
	;; [unrolled: 1-line block ×4, first 2 shown]
	ds_store_b128 v149, v[0:3]
	ds_store_b128 v149, v[4:7] offset:3328
	ds_store_b128 v149, v[8:11] offset:13312
	;; [unrolled: 1-line block ×3, first 2 shown]
	s_waitcnt lgkmcnt(0)
	s_barrier
	buffer_gl0_inv
	ds_load_b128 v[0:3], v149 offset:13312
	ds_load_b128 v[4:7], v149 offset:16640
	;; [unrolled: 1-line block ×4, first 2 shown]
	s_waitcnt lgkmcnt(3)
	v_mul_f64 v[16:17], v[98:99], v[2:3]
	v_mul_f64 v[18:19], v[98:99], v[0:1]
	s_waitcnt lgkmcnt(2)
	v_mul_f64 v[20:21], v[106:107], v[6:7]
	v_mul_f64 v[22:23], v[106:107], v[4:5]
	;; [unrolled: 3-line block ×4, first 2 shown]
	v_fma_f64 v[16:17], v[96:97], v[0:1], v[16:17]
	v_fma_f64 v[18:19], v[96:97], v[2:3], -v[18:19]
	v_fma_f64 v[20:21], v[104:105], v[4:5], v[20:21]
	v_fma_f64 v[22:23], v[104:105], v[6:7], -v[22:23]
	;; [unrolled: 2-line block ×4, first 2 shown]
	ds_load_b128 v[0:3], v149
	ds_load_b128 v[4:7], v149 offset:3328
	ds_load_b128 v[8:11], v149 offset:6656
	;; [unrolled: 1-line block ×3, first 2 shown]
	s_waitcnt lgkmcnt(3)
	v_add_f64 v[16:17], v[0:1], -v[16:17]
	v_add_f64 v[18:19], v[2:3], -v[18:19]
	s_waitcnt lgkmcnt(2)
	v_add_f64 v[20:21], v[4:5], -v[20:21]
	v_add_f64 v[22:23], v[6:7], -v[22:23]
	;; [unrolled: 3-line block ×4, first 2 shown]
	v_fma_f64 v[0:1], v[0:1], 2.0, -v[16:17]
	v_fma_f64 v[2:3], v[2:3], 2.0, -v[18:19]
	;; [unrolled: 1-line block ×8, first 2 shown]
	ds_store_b128 v149, v[16:19] offset:13312
	ds_store_b128 v149, v[20:23] offset:16640
	;; [unrolled: 1-line block ×4, first 2 shown]
	ds_store_b128 v149, v[0:3]
	ds_store_b128 v149, v[4:7] offset:3328
	ds_store_b128 v149, v[8:11] offset:6656
	;; [unrolled: 1-line block ×3, first 2 shown]
	s_waitcnt lgkmcnt(0)
	s_barrier
	buffer_gl0_inv
	s_and_b32 exec_lo, exec_lo, vcc_lo
	s_cbranch_execz .LBB0_15
; %bb.14:
	v_mad_u64_u32 v[104:105], null, s6, v244, 0
	v_mad_u64_u32 v[106:107], null, s4, v241, 0
	;; [unrolled: 1-line block ×17, first 2 shown]
	v_dual_mov_b32 v105, v132 :: v_dual_lshlrev_b32 v8, 4, v246
	v_dual_mov_b32 v107, v133 :: v_dual_lshlrev_b32 v12, 4, v144
	;; [unrolled: 1-line block ×8, first 2 shown]
	s_clause 0x9
	global_load_b128 v[0:3], v254, s[12:13]
	global_load_b128 v[32:35], v32, s[12:13]
	global_load_b128 v[4:7], v254, s[12:13] offset:2048
	global_load_b128 v[8:11], v8, s[12:13]
	global_load_b128 v[12:15], v12, s[12:13]
	;; [unrolled: 1-line block ×7, first 2 shown]
	scratch_load_b32 v147, off, off         ; 4-byte Folded Reload
	v_mad_u64_u32 v[122:123], null, s4, v251, 0
	v_mad_u64_u32 v[124:125], null, s4, v252, 0
	;; [unrolled: 1-line block ×4, first 2 shown]
	s_delay_alu instid0(VALU_DEP_4) | instskip(NEXT) | instid1(VALU_DEP_4)
	v_mad_u64_u32 v[140:141], null, s5, v250, v[121:122]
	v_mad_u64_u32 v[141:142], null, s5, v251, v[123:124]
	s_delay_alu instid0(VALU_DEP_4) | instskip(SKIP_1) | instid1(VALU_DEP_4)
	v_mad_u64_u32 v[142:143], null, s5, v252, v[125:126]
	v_lshlrev_b32_e32 v40, 4, v253
	v_dual_mov_b32 v121, v140 :: v_dual_lshlrev_b32 v44, 4, v255
	v_lshlrev_b64 v[104:105], 4, v[104:105]
	v_mov_b32_e32 v123, v141
	v_mad_u64_u32 v[143:144], null, s5, v253, v[127:128]
	v_lshlrev_b64 v[106:107], 4, v[106:107]
	s_mov_b32 s0, 0x13b13b14
	s_delay_alu instid0(VALU_DEP_4) | instskip(SKIP_1) | instid1(VALU_DEP_4)
	v_add_co_u32 v156, vcc_lo, s8, v104
	v_add_co_ci_u32_e32 v157, vcc_lo, s9, v105, vcc_lo
	v_mov_b32_e32 v127, v143
	v_lshlrev_b64 v[108:109], 4, v[108:109]
	s_mov_b32 s1, 0x3f43b13b
	v_lshlrev_b64 v[110:111], 4, v[110:111]
	v_add_co_u32 v106, vcc_lo, v156, v106
	v_add_co_ci_u32_e32 v107, vcc_lo, v157, v107, vcc_lo
	v_lshlrev_b64 v[112:113], 4, v[112:113]
	v_add_co_u32 v108, vcc_lo, v156, v108
	v_add_co_ci_u32_e32 v109, vcc_lo, v157, v109, vcc_lo
	v_lshlrev_b64 v[114:115], 4, v[114:115]
	v_add_co_u32 v110, vcc_lo, v156, v110
	v_add_co_ci_u32_e32 v111, vcc_lo, v157, v111, vcc_lo
	v_lshlrev_b64 v[116:117], 4, v[116:117]
	v_lshlrev_b64 v[118:119], 4, v[118:119]
	;; [unrolled: 1-line block ×5, first 2 shown]
	v_mov_b32_e32 v125, v142
	s_delay_alu instid0(VALU_DEP_1)
	v_lshlrev_b64 v[124:125], 4, v[124:125]
	s_waitcnt vmcnt(0)
	v_lshlrev_b32_e32 v48, 4, v147
	s_clause 0x2
	global_load_b128 v[40:43], v40, s[12:13]
	global_load_b128 v[44:47], v44, s[12:13]
	;; [unrolled: 1-line block ×3, first 2 shown]
	ds_load_b128 v[52:55], v149
	ds_load_b128 v[56:59], v254 offset:2048
	ds_load_b128 v[60:63], v254 offset:4096
	;; [unrolled: 1-line block ×10, first 2 shown]
	v_mad_u64_u32 v[130:131], null, s4, v147, 0
	ds_load_b128 v[96:99], v254 offset:22528
	ds_load_b128 v[100:103], v254 offset:24576
	v_mad_u64_u32 v[144:145], null, s5, v255, v[129:130]
	v_mad_u64_u32 v[145:146], null, s5, v147, v[131:132]
	s_waitcnt lgkmcnt(12)
	v_mul_f64 v[104:105], v[54:55], v[2:3]
	v_mul_f64 v[2:3], v[52:53], v[2:3]
	s_waitcnt lgkmcnt(11)
	v_mul_f64 v[132:133], v[58:59], v[6:7]
	v_mul_f64 v[6:7], v[56:57], v[6:7]
	;; [unrolled: 3-line block ×7, first 2 shown]
	v_mov_b32_e32 v129, v144
	v_mov_b32_e32 v131, v145
	s_waitcnt lgkmcnt(5)
	v_mul_f64 v[144:145], v[82:83], v[30:31]
	v_mul_f64 v[30:31], v[80:81], v[30:31]
	s_waitcnt lgkmcnt(4)
	v_mul_f64 v[146:147], v[86:87], v[34:35]
	v_mul_f64 v[34:35], v[84:85], v[34:35]
	;; [unrolled: 3-line block ×3, first 2 shown]
	v_lshlrev_b64 v[128:129], 4, v[128:129]
	v_lshlrev_b64 v[130:131], 4, v[130:131]
	v_fma_f64 v[52:53], v[52:53], v[0:1], v[104:105]
	v_fma_f64 v[2:3], v[0:1], v[54:55], -v[2:3]
	v_fma_f64 v[54:55], v[56:57], v[4:5], v[132:133]
	v_fma_f64 v[6:7], v[4:5], v[58:59], -v[6:7]
	;; [unrolled: 2-line block ×7, first 2 shown]
	v_add_co_u32 v78, vcc_lo, v156, v112
	v_fma_f64 v[66:67], v[80:81], v[28:29], v[144:145]
	v_fma_f64 v[30:31], v[28:29], v[82:83], -v[30:31]
	v_fma_f64 v[68:69], v[84:85], v[32:33], v[146:147]
	v_fma_f64 v[34:35], v[32:33], v[86:87], -v[34:35]
	;; [unrolled: 2-line block ×3, first 2 shown]
	v_add_co_ci_u32_e32 v79, vcc_lo, v157, v113, vcc_lo
	v_add_co_u32 v80, vcc_lo, v156, v114
	v_add_co_ci_u32_e32 v81, vcc_lo, v157, v115, vcc_lo
	v_add_co_u32 v82, vcc_lo, v156, v116
	v_add_co_ci_u32_e32 v83, vcc_lo, v157, v117, vcc_lo
	v_mul_f64 v[0:1], v[52:53], s[0:1]
	v_mul_f64 v[2:3], v[2:3], s[0:1]
	;; [unrolled: 1-line block ×14, first 2 shown]
	v_add_co_u32 v52, vcc_lo, v156, v118
	v_mul_f64 v[28:29], v[66:67], s[0:1]
	v_mul_f64 v[30:31], v[30:31], s[0:1]
	;; [unrolled: 1-line block ×6, first 2 shown]
	v_add_co_ci_u32_e32 v53, vcc_lo, v157, v119, vcc_lo
	v_add_co_u32 v54, vcc_lo, v156, v120
	v_add_co_ci_u32_e32 v55, vcc_lo, v157, v121, vcc_lo
	v_add_co_u32 v56, vcc_lo, v156, v122
	;; [unrolled: 2-line block ×6, first 2 shown]
	v_add_co_ci_u32_e32 v65, vcc_lo, v157, v131, vcc_lo
	s_waitcnt vmcnt(2) lgkmcnt(2)
	v_mul_f64 v[150:151], v[94:95], v[42:43]
	v_mul_f64 v[42:43], v[92:93], v[42:43]
	s_waitcnt vmcnt(1) lgkmcnt(1)
	v_mul_f64 v[152:153], v[98:99], v[46:47]
	v_mul_f64 v[46:47], v[96:97], v[46:47]
	;; [unrolled: 3-line block ×3, first 2 shown]
	v_fma_f64 v[72:73], v[92:93], v[40:41], v[150:151]
	v_fma_f64 v[42:43], v[40:41], v[94:95], -v[42:43]
	v_fma_f64 v[74:75], v[96:97], v[44:45], v[152:153]
	v_fma_f64 v[46:47], v[44:45], v[98:99], -v[46:47]
	;; [unrolled: 2-line block ×3, first 2 shown]
	v_mul_f64 v[40:41], v[72:73], s[0:1]
	v_mul_f64 v[42:43], v[42:43], s[0:1]
	;; [unrolled: 1-line block ×6, first 2 shown]
	s_clause 0xc
	global_store_b128 v[106:107], v[0:3], off
	global_store_b128 v[108:109], v[4:7], off
	global_store_b128 v[110:111], v[8:11], off
	global_store_b128 v[78:79], v[12:15], off
	global_store_b128 v[80:81], v[16:19], off
	global_store_b128 v[82:83], v[20:23], off
	global_store_b128 v[52:53], v[24:27], off
	global_store_b128 v[54:55], v[28:31], off
	global_store_b128 v[56:57], v[32:35], off
	global_store_b128 v[58:59], v[36:39], off
	global_store_b128 v[60:61], v[40:43], off
	global_store_b128 v[62:63], v[44:47], off
	global_store_b128 v[64:65], v[48:51], off
.LBB0_15:
	s_nop 0
	s_sendmsg sendmsg(MSG_DEALLOC_VGPRS)
	s_endpgm
	.section	.rodata,"a",@progbits
	.p2align	6, 0x0
	.amdhsa_kernel bluestein_single_fwd_len1664_dim1_dp_op_CI_CI
		.amdhsa_group_segment_fixed_size 26624
		.amdhsa_private_segment_fixed_size 88
		.amdhsa_kernarg_size 104
		.amdhsa_user_sgpr_count 15
		.amdhsa_user_sgpr_dispatch_ptr 0
		.amdhsa_user_sgpr_queue_ptr 0
		.amdhsa_user_sgpr_kernarg_segment_ptr 1
		.amdhsa_user_sgpr_dispatch_id 0
		.amdhsa_user_sgpr_private_segment_size 0
		.amdhsa_wavefront_size32 1
		.amdhsa_uses_dynamic_stack 0
		.amdhsa_enable_private_segment 1
		.amdhsa_system_sgpr_workgroup_id_x 1
		.amdhsa_system_sgpr_workgroup_id_y 0
		.amdhsa_system_sgpr_workgroup_id_z 0
		.amdhsa_system_sgpr_workgroup_info 0
		.amdhsa_system_vgpr_workitem_id 0
		.amdhsa_next_free_vgpr 256
		.amdhsa_next_free_sgpr 46
		.amdhsa_reserve_vcc 1
		.amdhsa_float_round_mode_32 0
		.amdhsa_float_round_mode_16_64 0
		.amdhsa_float_denorm_mode_32 3
		.amdhsa_float_denorm_mode_16_64 3
		.amdhsa_dx10_clamp 1
		.amdhsa_ieee_mode 1
		.amdhsa_fp16_overflow 0
		.amdhsa_workgroup_processor_mode 1
		.amdhsa_memory_ordered 1
		.amdhsa_forward_progress 0
		.amdhsa_shared_vgpr_count 0
		.amdhsa_exception_fp_ieee_invalid_op 0
		.amdhsa_exception_fp_denorm_src 0
		.amdhsa_exception_fp_ieee_div_zero 0
		.amdhsa_exception_fp_ieee_overflow 0
		.amdhsa_exception_fp_ieee_underflow 0
		.amdhsa_exception_fp_ieee_inexact 0
		.amdhsa_exception_int_div_zero 0
	.end_amdhsa_kernel
	.text
.Lfunc_end0:
	.size	bluestein_single_fwd_len1664_dim1_dp_op_CI_CI, .Lfunc_end0-bluestein_single_fwd_len1664_dim1_dp_op_CI_CI
                                        ; -- End function
	.section	.AMDGPU.csdata,"",@progbits
; Kernel info:
; codeLenInByte = 20680
; NumSgprs: 48
; NumVgprs: 256
; ScratchSize: 88
; MemoryBound: 0
; FloatMode: 240
; IeeeMode: 1
; LDSByteSize: 26624 bytes/workgroup (compile time only)
; SGPRBlocks: 5
; VGPRBlocks: 31
; NumSGPRsForWavesPerEU: 48
; NumVGPRsForWavesPerEU: 256
; Occupancy: 5
; WaveLimiterHint : 1
; COMPUTE_PGM_RSRC2:SCRATCH_EN: 1
; COMPUTE_PGM_RSRC2:USER_SGPR: 15
; COMPUTE_PGM_RSRC2:TRAP_HANDLER: 0
; COMPUTE_PGM_RSRC2:TGID_X_EN: 1
; COMPUTE_PGM_RSRC2:TGID_Y_EN: 0
; COMPUTE_PGM_RSRC2:TGID_Z_EN: 0
; COMPUTE_PGM_RSRC2:TIDIG_COMP_CNT: 0
	.text
	.p2alignl 7, 3214868480
	.fill 96, 4, 3214868480
	.type	__hip_cuid_586ac0ddc0487097,@object ; @__hip_cuid_586ac0ddc0487097
	.section	.bss,"aw",@nobits
	.globl	__hip_cuid_586ac0ddc0487097
__hip_cuid_586ac0ddc0487097:
	.byte	0                               ; 0x0
	.size	__hip_cuid_586ac0ddc0487097, 1

	.ident	"AMD clang version 19.0.0git (https://github.com/RadeonOpenCompute/llvm-project roc-6.4.0 25133 c7fe45cf4b819c5991fe208aaa96edf142730f1d)"
	.section	".note.GNU-stack","",@progbits
	.addrsig
	.addrsig_sym __hip_cuid_586ac0ddc0487097
	.amdgpu_metadata
---
amdhsa.kernels:
  - .args:
      - .actual_access:  read_only
        .address_space:  global
        .offset:         0
        .size:           8
        .value_kind:     global_buffer
      - .actual_access:  read_only
        .address_space:  global
        .offset:         8
        .size:           8
        .value_kind:     global_buffer
      - .actual_access:  read_only
        .address_space:  global
        .offset:         16
        .size:           8
        .value_kind:     global_buffer
      - .actual_access:  read_only
        .address_space:  global
        .offset:         24
        .size:           8
        .value_kind:     global_buffer
      - .actual_access:  read_only
        .address_space:  global
        .offset:         32
        .size:           8
        .value_kind:     global_buffer
      - .offset:         40
        .size:           8
        .value_kind:     by_value
      - .address_space:  global
        .offset:         48
        .size:           8
        .value_kind:     global_buffer
      - .address_space:  global
        .offset:         56
        .size:           8
        .value_kind:     global_buffer
      - .address_space:  global
        .offset:         64
        .size:           8
        .value_kind:     global_buffer
      - .address_space:  global
        .offset:         72
        .size:           8
        .value_kind:     global_buffer
      - .offset:         80
        .size:           4
        .value_kind:     by_value
      - .address_space:  global
        .offset:         88
        .size:           8
        .value_kind:     global_buffer
      - .address_space:  global
        .offset:         96
        .size:           8
        .value_kind:     global_buffer
    .group_segment_fixed_size: 26624
    .kernarg_segment_align: 8
    .kernarg_segment_size: 104
    .language:       OpenCL C
    .language_version:
      - 2
      - 0
    .max_flat_workgroup_size: 208
    .name:           bluestein_single_fwd_len1664_dim1_dp_op_CI_CI
    .private_segment_fixed_size: 88
    .sgpr_count:     48
    .sgpr_spill_count: 0
    .symbol:         bluestein_single_fwd_len1664_dim1_dp_op_CI_CI.kd
    .uniform_work_group_size: 1
    .uses_dynamic_stack: false
    .vgpr_count:     256
    .vgpr_spill_count: 21
    .wavefront_size: 32
    .workgroup_processor_mode: 1
amdhsa.target:   amdgcn-amd-amdhsa--gfx1100
amdhsa.version:
  - 1
  - 2
...

	.end_amdgpu_metadata
